;; amdgpu-corpus repo=ROCm/rocSPARSE kind=compiled arch=gfx90a opt=O3
	.text
	.amdgcn_target "amdgcn-amd-amdhsa--gfx90a"
	.amdhsa_code_object_version 6
	.section	.text._ZN9rocsparseL11roti_kernelILj512EifEEvT0_PT1_PKS1_S3_NS_24const_host_device_scalarIS2_EES7_21rocsparse_index_base_b,"axG",@progbits,_ZN9rocsparseL11roti_kernelILj512EifEEvT0_PT1_PKS1_S3_NS_24const_host_device_scalarIS2_EES7_21rocsparse_index_base_b,comdat
	.globl	_ZN9rocsparseL11roti_kernelILj512EifEEvT0_PT1_PKS1_S3_NS_24const_host_device_scalarIS2_EES7_21rocsparse_index_base_b ; -- Begin function _ZN9rocsparseL11roti_kernelILj512EifEEvT0_PT1_PKS1_S3_NS_24const_host_device_scalarIS2_EES7_21rocsparse_index_base_b
	.p2align	8
	.type	_ZN9rocsparseL11roti_kernelILj512EifEEvT0_PT1_PKS1_S3_NS_24const_host_device_scalarIS2_EES7_21rocsparse_index_base_b,@function
_ZN9rocsparseL11roti_kernelILj512EifEEvT0_PT1_PKS1_S3_NS_24const_host_device_scalarIS2_EES7_21rocsparse_index_base_b: ; @_ZN9rocsparseL11roti_kernelILj512EifEEvT0_PT1_PKS1_S3_NS_24const_host_device_scalarIS2_EES7_21rocsparse_index_base_b
; %bb.0:
	s_load_dwordx2 s[8:9], s[4:5], 0x30
	s_load_dwordx4 s[0:3], s[4:5], 0x20
	s_waitcnt lgkmcnt(0)
	s_bitcmp1_b32 s9, 0
	s_cselect_b64 s[12:13], -1, 0
	s_xor_b64 s[10:11], s[12:13], -1
	s_and_b64 vcc, exec, s[12:13]
	s_cbranch_vccnz .LBB0_2
; %bb.1:
	s_load_dword s0, s[0:1], 0x0
.LBB0_2:
	s_andn2_b64 vcc, exec, s[10:11]
	s_cbranch_vccnz .LBB0_4
; %bb.3:
	s_load_dword s2, s[2:3], 0x0
.LBB0_4:
	s_waitcnt lgkmcnt(0)
	v_cmp_eq_f32_e64 s[10:11], s0, 1.0
	v_cmp_eq_f32_e64 s[12:13], s2, 0
	s_and_b64 s[10:11], s[10:11], s[12:13]
	s_and_b64 vcc, exec, s[10:11]
	s_cbranch_vccnz .LBB0_7
; %bb.5:
	s_load_dword s1, s[4:5], 0x0
	v_lshl_or_b32 v0, s6, 9, v0
	s_waitcnt lgkmcnt(0)
	v_cmp_gt_i32_e32 vcc, s1, v0
	s_and_saveexec_b64 s[6:7], vcc
	s_cbranch_execz .LBB0_7
; %bb.6:
	s_load_dwordx4 s[12:15], s[4:5], 0x8
	s_load_dwordx2 s[6:7], s[4:5], 0x18
	v_ashrrev_i32_e32 v1, 31, v0
	v_lshlrev_b64 v[0:1], 2, v[0:1]
	s_waitcnt lgkmcnt(0)
	v_mov_b32_e32 v3, s15
	v_add_co_u32_e32 v2, vcc, s14, v0
	v_addc_co_u32_e32 v3, vcc, v3, v1, vcc
	global_load_dword v2, v[2:3], off
	v_mov_b32_e32 v3, s13
	v_add_co_u32_e32 v0, vcc, s12, v0
	v_addc_co_u32_e32 v1, vcc, v3, v1, vcc
	v_mov_b32_e32 v4, s7
	global_load_dword v5, v[0:1], off
	s_waitcnt vmcnt(1)
	v_subrev_u32_e32 v2, s8, v2
	v_ashrrev_i32_e32 v3, 31, v2
	v_lshlrev_b64 v[2:3], 2, v[2:3]
	v_add_co_u32_e32 v2, vcc, s6, v2
	v_addc_co_u32_e32 v3, vcc, v4, v3, vcc
	global_load_dword v4, v[2:3], off
	s_waitcnt vmcnt(1)
	v_mul_f32_e32 v6, s2, v5
	s_waitcnt vmcnt(0)
	v_mul_f32_e32 v7, s2, v4
	v_fmac_f32_e32 v7, s0, v5
	v_fma_f32 v4, s0, v4, -v6
	global_store_dword v[0:1], v7, off
	global_store_dword v[2:3], v4, off
.LBB0_7:
	s_endpgm
	.section	.rodata,"a",@progbits
	.p2align	6, 0x0
	.amdhsa_kernel _ZN9rocsparseL11roti_kernelILj512EifEEvT0_PT1_PKS1_S3_NS_24const_host_device_scalarIS2_EES7_21rocsparse_index_base_b
		.amdhsa_group_segment_fixed_size 0
		.amdhsa_private_segment_fixed_size 0
		.amdhsa_kernarg_size 56
		.amdhsa_user_sgpr_count 6
		.amdhsa_user_sgpr_private_segment_buffer 1
		.amdhsa_user_sgpr_dispatch_ptr 0
		.amdhsa_user_sgpr_queue_ptr 0
		.amdhsa_user_sgpr_kernarg_segment_ptr 1
		.amdhsa_user_sgpr_dispatch_id 0
		.amdhsa_user_sgpr_flat_scratch_init 0
		.amdhsa_user_sgpr_kernarg_preload_length 0
		.amdhsa_user_sgpr_kernarg_preload_offset 0
		.amdhsa_user_sgpr_private_segment_size 0
		.amdhsa_uses_dynamic_stack 0
		.amdhsa_system_sgpr_private_segment_wavefront_offset 0
		.amdhsa_system_sgpr_workgroup_id_x 1
		.amdhsa_system_sgpr_workgroup_id_y 0
		.amdhsa_system_sgpr_workgroup_id_z 0
		.amdhsa_system_sgpr_workgroup_info 0
		.amdhsa_system_vgpr_workitem_id 0
		.amdhsa_next_free_vgpr 8
		.amdhsa_next_free_sgpr 16
		.amdhsa_accum_offset 8
		.amdhsa_reserve_vcc 1
		.amdhsa_reserve_flat_scratch 0
		.amdhsa_float_round_mode_32 0
		.amdhsa_float_round_mode_16_64 0
		.amdhsa_float_denorm_mode_32 3
		.amdhsa_float_denorm_mode_16_64 3
		.amdhsa_dx10_clamp 1
		.amdhsa_ieee_mode 1
		.amdhsa_fp16_overflow 0
		.amdhsa_tg_split 0
		.amdhsa_exception_fp_ieee_invalid_op 0
		.amdhsa_exception_fp_denorm_src 0
		.amdhsa_exception_fp_ieee_div_zero 0
		.amdhsa_exception_fp_ieee_overflow 0
		.amdhsa_exception_fp_ieee_underflow 0
		.amdhsa_exception_fp_ieee_inexact 0
		.amdhsa_exception_int_div_zero 0
	.end_amdhsa_kernel
	.section	.text._ZN9rocsparseL11roti_kernelILj512EifEEvT0_PT1_PKS1_S3_NS_24const_host_device_scalarIS2_EES7_21rocsparse_index_base_b,"axG",@progbits,_ZN9rocsparseL11roti_kernelILj512EifEEvT0_PT1_PKS1_S3_NS_24const_host_device_scalarIS2_EES7_21rocsparse_index_base_b,comdat
.Lfunc_end0:
	.size	_ZN9rocsparseL11roti_kernelILj512EifEEvT0_PT1_PKS1_S3_NS_24const_host_device_scalarIS2_EES7_21rocsparse_index_base_b, .Lfunc_end0-_ZN9rocsparseL11roti_kernelILj512EifEEvT0_PT1_PKS1_S3_NS_24const_host_device_scalarIS2_EES7_21rocsparse_index_base_b
                                        ; -- End function
	.section	.AMDGPU.csdata,"",@progbits
; Kernel info:
; codeLenInByte = 288
; NumSgprs: 20
; NumVgprs: 8
; NumAgprs: 0
; TotalNumVgprs: 8
; ScratchSize: 0
; MemoryBound: 0
; FloatMode: 240
; IeeeMode: 1
; LDSByteSize: 0 bytes/workgroup (compile time only)
; SGPRBlocks: 2
; VGPRBlocks: 0
; NumSGPRsForWavesPerEU: 20
; NumVGPRsForWavesPerEU: 8
; AccumOffset: 8
; Occupancy: 8
; WaveLimiterHint : 1
; COMPUTE_PGM_RSRC2:SCRATCH_EN: 0
; COMPUTE_PGM_RSRC2:USER_SGPR: 6
; COMPUTE_PGM_RSRC2:TRAP_HANDLER: 0
; COMPUTE_PGM_RSRC2:TGID_X_EN: 1
; COMPUTE_PGM_RSRC2:TGID_Y_EN: 0
; COMPUTE_PGM_RSRC2:TGID_Z_EN: 0
; COMPUTE_PGM_RSRC2:TIDIG_COMP_CNT: 0
; COMPUTE_PGM_RSRC3_GFX90A:ACCUM_OFFSET: 1
; COMPUTE_PGM_RSRC3_GFX90A:TG_SPLIT: 0
	.section	.text._ZN9rocsparseL11roti_kernelILj512Ei21rocsparse_complex_numIfEEEvT0_PT1_PKS3_S5_NS_24const_host_device_scalarIS4_EES9_21rocsparse_index_base_b,"axG",@progbits,_ZN9rocsparseL11roti_kernelILj512Ei21rocsparse_complex_numIfEEEvT0_PT1_PKS3_S5_NS_24const_host_device_scalarIS4_EES9_21rocsparse_index_base_b,comdat
	.globl	_ZN9rocsparseL11roti_kernelILj512Ei21rocsparse_complex_numIfEEEvT0_PT1_PKS3_S5_NS_24const_host_device_scalarIS4_EES9_21rocsparse_index_base_b ; -- Begin function _ZN9rocsparseL11roti_kernelILj512Ei21rocsparse_complex_numIfEEEvT0_PT1_PKS3_S5_NS_24const_host_device_scalarIS4_EES9_21rocsparse_index_base_b
	.p2align	8
	.type	_ZN9rocsparseL11roti_kernelILj512Ei21rocsparse_complex_numIfEEEvT0_PT1_PKS3_S5_NS_24const_host_device_scalarIS4_EES9_21rocsparse_index_base_b,@function
_ZN9rocsparseL11roti_kernelILj512Ei21rocsparse_complex_numIfEEEvT0_PT1_PKS3_S5_NS_24const_host_device_scalarIS4_EES9_21rocsparse_index_base_b: ; @_ZN9rocsparseL11roti_kernelILj512Ei21rocsparse_complex_numIfEEEvT0_PT1_PKS3_S5_NS_24const_host_device_scalarIS4_EES9_21rocsparse_index_base_b
; %bb.0:
	s_load_dwordx2 s[2:3], s[4:5], 0x30
	s_load_dwordx4 s[8:11], s[4:5], 0x20
	s_load_dwordx2 s[12:13], s[4:5], 0x20
	s_waitcnt lgkmcnt(0)
	s_bitcmp1_b32 s3, 0
	s_cselect_b64 s[0:1], -1, 0
	s_xor_b64 s[14:15], s[0:1], -1
	s_and_b64 vcc, exec, s[0:1]
	v_mov_b32_e32 v1, s12
	s_cbranch_vccnz .LBB1_2
; %bb.1:
	v_pk_mov_b32 v[2:3], s[8:9], s[8:9] op_sel:[0,1]
	flat_load_dword v1, v[2:3]
.LBB1_2:
	v_cndmask_b32_e64 v2, 0, 1, s[14:15]
	v_cmp_ne_u32_e64 s[0:1], 1, v2
	s_andn2_b64 vcc, exec, s[14:15]
	v_mov_b32_e32 v3, s13
	s_cbranch_vccz .LBB1_12
; %bb.3:
	s_and_b64 vcc, exec, s[0:1]
	v_mov_b32_e32 v4, s10
	s_cbranch_vccz .LBB1_13
.LBB1_4:
	s_and_b64 vcc, exec, s[0:1]
	v_mov_b32_e32 v5, s11
	s_cbranch_vccnz .LBB1_6
.LBB1_5:
	v_pk_mov_b32 v[6:7], s[10:11], s[10:11] op_sel:[0,1]
	flat_load_dword v5, v[6:7] offset:4
.LBB1_6:
	s_waitcnt vmcnt(0) lgkmcnt(0)
	v_cmp_eq_f32_e32 vcc, 1.0, v1
	v_cmp_eq_f32_e64 s[0:1], 0, v3
	s_and_b64 s[10:11], vcc, s[0:1]
	s_mov_b64 s[0:1], -1
	s_and_saveexec_b64 s[8:9], s[10:11]
; %bb.7:
	v_or_b32_e32 v2, v4, v5
	v_and_b32_e32 v2, 0x7fffffff, v2
	v_cmp_ne_u32_e32 vcc, 0, v2
	s_orn2_b64 s[0:1], vcc, exec
; %bb.8:
	s_or_b64 exec, exec, s[8:9]
	s_and_saveexec_b64 s[8:9], s[0:1]
	s_cbranch_execz .LBB1_11
; %bb.9:
	s_load_dword s0, s[4:5], 0x0
	v_lshl_or_b32 v6, s6, 9, v0
	s_waitcnt lgkmcnt(0)
	v_cmp_gt_i32_e32 vcc, s0, v6
	s_and_b64 exec, exec, vcc
	s_cbranch_execz .LBB1_11
; %bb.10:
	s_load_dwordx4 s[8:11], s[4:5], 0x8
	s_load_dwordx2 s[0:1], s[4:5], 0x18
	v_ashrrev_i32_e32 v7, 31, v6
	v_lshlrev_b64 v[8:9], 2, v[6:7]
	v_lshlrev_b64 v[6:7], 3, v[6:7]
	s_waitcnt lgkmcnt(0)
	v_mov_b32_e32 v0, s11
	v_add_co_u32_e32 v8, vcc, s10, v8
	v_addc_co_u32_e32 v9, vcc, v0, v9, vcc
	global_load_dword v0, v[8:9], off
	v_mov_b32_e32 v2, s9
	v_add_co_u32_e32 v6, vcc, s8, v6
	v_addc_co_u32_e32 v7, vcc, v2, v7, vcc
	v_mov_b32_e32 v12, s1
	global_load_dwordx2 v[8:9], v[6:7], off
	v_xor_b32_e32 v14, 0x80000000, v5
	v_mov_b32_e32 v15, v4
	v_mov_b32_e32 v2, v1
	s_waitcnt vmcnt(1)
	v_subrev_u32_e32 v10, s2, v0
	v_ashrrev_i32_e32 v11, 31, v10
	v_lshlrev_b64 v[10:11], 3, v[10:11]
	v_add_co_u32_e32 v10, vcc, s0, v10
	v_addc_co_u32_e32 v11, vcc, v12, v11, vcc
	global_load_dwordx2 v[12:13], v[10:11], off
	v_xor_b32_e32 v0, 0x80000000, v3
	s_waitcnt vmcnt(1)
	v_pk_mul_f32 v[16:17], v[8:9], v[0:1] op_sel:[1,0]
	v_pk_mul_f32 v[18:19], v[8:9], v[14:15] op_sel:[1,0]
	v_pk_fma_f32 v[16:17], v[2:3], v[8:9], v[16:17] op_sel_hi:[1,0,1]
	v_pk_fma_f32 v[8:9], v[4:5], v[8:9], v[18:19] op_sel_hi:[1,0,1]
	s_waitcnt vmcnt(0)
	v_pk_mul_f32 v[14:15], v[12:13], v[14:15] op_sel:[1,0]
	v_pk_mul_f32 v[0:1], v[12:13], v[0:1] op_sel:[1,0]
	v_pk_fma_f32 v[4:5], v[4:5], v[12:13], v[14:15] op_sel_hi:[1,0,1]
	v_pk_fma_f32 v[0:1], v[2:3], v[12:13], v[0:1] op_sel_hi:[1,0,1]
	v_pk_add_f32 v[2:3], v[16:17], v[4:5]
	v_pk_add_f32 v[0:1], v[0:1], v[8:9] neg_lo:[0,1] neg_hi:[0,1]
	global_store_dwordx2 v[6:7], v[2:3], off
	global_store_dwordx2 v[10:11], v[0:1], off
.LBB1_11:
	s_endpgm
.LBB1_12:
	v_pk_mov_b32 v[2:3], s[8:9], s[8:9] op_sel:[0,1]
	flat_load_dword v3, v[2:3] offset:4
	s_and_b64 vcc, exec, s[0:1]
	v_mov_b32_e32 v4, s10
	s_cbranch_vccnz .LBB1_4
.LBB1_13:
	v_pk_mov_b32 v[4:5], s[10:11], s[10:11] op_sel:[0,1]
	flat_load_dword v4, v[4:5]
	s_and_b64 vcc, exec, s[0:1]
	v_mov_b32_e32 v5, s11
	s_cbranch_vccz .LBB1_5
	s_branch .LBB1_6
	.section	.rodata,"a",@progbits
	.p2align	6, 0x0
	.amdhsa_kernel _ZN9rocsparseL11roti_kernelILj512Ei21rocsparse_complex_numIfEEEvT0_PT1_PKS3_S5_NS_24const_host_device_scalarIS4_EES9_21rocsparse_index_base_b
		.amdhsa_group_segment_fixed_size 0
		.amdhsa_private_segment_fixed_size 0
		.amdhsa_kernarg_size 56
		.amdhsa_user_sgpr_count 6
		.amdhsa_user_sgpr_private_segment_buffer 1
		.amdhsa_user_sgpr_dispatch_ptr 0
		.amdhsa_user_sgpr_queue_ptr 0
		.amdhsa_user_sgpr_kernarg_segment_ptr 1
		.amdhsa_user_sgpr_dispatch_id 0
		.amdhsa_user_sgpr_flat_scratch_init 0
		.amdhsa_user_sgpr_kernarg_preload_length 0
		.amdhsa_user_sgpr_kernarg_preload_offset 0
		.amdhsa_user_sgpr_private_segment_size 0
		.amdhsa_uses_dynamic_stack 0
		.amdhsa_system_sgpr_private_segment_wavefront_offset 0
		.amdhsa_system_sgpr_workgroup_id_x 1
		.amdhsa_system_sgpr_workgroup_id_y 0
		.amdhsa_system_sgpr_workgroup_id_z 0
		.amdhsa_system_sgpr_workgroup_info 0
		.amdhsa_system_vgpr_workitem_id 0
		.amdhsa_next_free_vgpr 20
		.amdhsa_next_free_sgpr 16
		.amdhsa_accum_offset 20
		.amdhsa_reserve_vcc 1
		.amdhsa_reserve_flat_scratch 0
		.amdhsa_float_round_mode_32 0
		.amdhsa_float_round_mode_16_64 0
		.amdhsa_float_denorm_mode_32 3
		.amdhsa_float_denorm_mode_16_64 3
		.amdhsa_dx10_clamp 1
		.amdhsa_ieee_mode 1
		.amdhsa_fp16_overflow 0
		.amdhsa_tg_split 0
		.amdhsa_exception_fp_ieee_invalid_op 0
		.amdhsa_exception_fp_denorm_src 0
		.amdhsa_exception_fp_ieee_div_zero 0
		.amdhsa_exception_fp_ieee_overflow 0
		.amdhsa_exception_fp_ieee_underflow 0
		.amdhsa_exception_fp_ieee_inexact 0
		.amdhsa_exception_int_div_zero 0
	.end_amdhsa_kernel
	.section	.text._ZN9rocsparseL11roti_kernelILj512Ei21rocsparse_complex_numIfEEEvT0_PT1_PKS3_S5_NS_24const_host_device_scalarIS4_EES9_21rocsparse_index_base_b,"axG",@progbits,_ZN9rocsparseL11roti_kernelILj512Ei21rocsparse_complex_numIfEEEvT0_PT1_PKS3_S5_NS_24const_host_device_scalarIS4_EES9_21rocsparse_index_base_b,comdat
.Lfunc_end1:
	.size	_ZN9rocsparseL11roti_kernelILj512Ei21rocsparse_complex_numIfEEEvT0_PT1_PKS3_S5_NS_24const_host_device_scalarIS4_EES9_21rocsparse_index_base_b, .Lfunc_end1-_ZN9rocsparseL11roti_kernelILj512Ei21rocsparse_complex_numIfEEEvT0_PT1_PKS3_S5_NS_24const_host_device_scalarIS4_EES9_21rocsparse_index_base_b
                                        ; -- End function
	.section	.AMDGPU.csdata,"",@progbits
; Kernel info:
; codeLenInByte = 540
; NumSgprs: 20
; NumVgprs: 20
; NumAgprs: 0
; TotalNumVgprs: 20
; ScratchSize: 0
; MemoryBound: 0
; FloatMode: 240
; IeeeMode: 1
; LDSByteSize: 0 bytes/workgroup (compile time only)
; SGPRBlocks: 2
; VGPRBlocks: 2
; NumSGPRsForWavesPerEU: 20
; NumVGPRsForWavesPerEU: 20
; AccumOffset: 20
; Occupancy: 8
; WaveLimiterHint : 1
; COMPUTE_PGM_RSRC2:SCRATCH_EN: 0
; COMPUTE_PGM_RSRC2:USER_SGPR: 6
; COMPUTE_PGM_RSRC2:TRAP_HANDLER: 0
; COMPUTE_PGM_RSRC2:TGID_X_EN: 1
; COMPUTE_PGM_RSRC2:TGID_Y_EN: 0
; COMPUTE_PGM_RSRC2:TGID_Z_EN: 0
; COMPUTE_PGM_RSRC2:TIDIG_COMP_CNT: 0
; COMPUTE_PGM_RSRC3_GFX90A:ACCUM_OFFSET: 4
; COMPUTE_PGM_RSRC3_GFX90A:TG_SPLIT: 0
	.section	.text._ZN9rocsparseL11roti_kernelILj512EidEEvT0_PT1_PKS1_S3_NS_24const_host_device_scalarIS2_EES7_21rocsparse_index_base_b,"axG",@progbits,_ZN9rocsparseL11roti_kernelILj512EidEEvT0_PT1_PKS1_S3_NS_24const_host_device_scalarIS2_EES7_21rocsparse_index_base_b,comdat
	.globl	_ZN9rocsparseL11roti_kernelILj512EidEEvT0_PT1_PKS1_S3_NS_24const_host_device_scalarIS2_EES7_21rocsparse_index_base_b ; -- Begin function _ZN9rocsparseL11roti_kernelILj512EidEEvT0_PT1_PKS1_S3_NS_24const_host_device_scalarIS2_EES7_21rocsparse_index_base_b
	.p2align	8
	.type	_ZN9rocsparseL11roti_kernelILj512EidEEvT0_PT1_PKS1_S3_NS_24const_host_device_scalarIS2_EES7_21rocsparse_index_base_b,@function
_ZN9rocsparseL11roti_kernelILj512EidEEvT0_PT1_PKS1_S3_NS_24const_host_device_scalarIS2_EES7_21rocsparse_index_base_b: ; @_ZN9rocsparseL11roti_kernelILj512EidEEvT0_PT1_PKS1_S3_NS_24const_host_device_scalarIS2_EES7_21rocsparse_index_base_b
; %bb.0:
	s_load_dwordx2 s[8:9], s[4:5], 0x30
	s_load_dwordx4 s[0:3], s[4:5], 0x20
	s_waitcnt lgkmcnt(0)
	s_bitcmp1_b32 s9, 0
	s_cselect_b64 s[12:13], -1, 0
	s_xor_b64 s[10:11], s[12:13], -1
	s_and_b64 vcc, exec, s[12:13]
	v_pk_mov_b32 v[2:3], s[0:1], s[0:1] op_sel:[0,1]
	s_cbranch_vccnz .LBB2_2
; %bb.1:
	v_pk_mov_b32 v[2:3], s[0:1], s[0:1] op_sel:[0,1]
	flat_load_dwordx2 v[2:3], v[2:3]
.LBB2_2:
	s_andn2_b64 vcc, exec, s[10:11]
	v_pk_mov_b32 v[4:5], s[2:3], s[2:3] op_sel:[0,1]
	s_cbranch_vccnz .LBB2_4
; %bb.3:
	v_pk_mov_b32 v[4:5], s[2:3], s[2:3] op_sel:[0,1]
	flat_load_dwordx2 v[4:5], v[4:5]
.LBB2_4:
	s_waitcnt vmcnt(0) lgkmcnt(0)
	v_cmp_neq_f64_e32 vcc, 1.0, v[2:3]
	v_cmp_neq_f64_e64 s[0:1], 0, v[4:5]
	s_or_b64 s[0:1], vcc, s[0:1]
	s_and_saveexec_b64 s[2:3], s[0:1]
	s_cbranch_execz .LBB2_7
; %bb.5:
	s_load_dword s0, s[4:5], 0x0
	v_lshl_or_b32 v0, s6, 9, v0
	s_waitcnt lgkmcnt(0)
	v_cmp_gt_i32_e32 vcc, s0, v0
	s_and_b64 exec, exec, vcc
	s_cbranch_execz .LBB2_7
; %bb.6:
	s_load_dwordx4 s[0:3], s[4:5], 0x8
	s_load_dwordx2 s[6:7], s[4:5], 0x18
	v_ashrrev_i32_e32 v1, 31, v0
	v_lshlrev_b64 v[6:7], 2, v[0:1]
	v_lshlrev_b64 v[0:1], 3, v[0:1]
	s_waitcnt lgkmcnt(0)
	v_mov_b32_e32 v8, s3
	v_add_co_u32_e32 v6, vcc, s2, v6
	v_addc_co_u32_e32 v7, vcc, v8, v7, vcc
	global_load_dword v8, v[6:7], off
	v_mov_b32_e32 v6, s1
	v_add_co_u32_e32 v0, vcc, s0, v0
	v_addc_co_u32_e32 v1, vcc, v6, v1, vcc
	v_mov_b32_e32 v10, s7
	global_load_dwordx2 v[6:7], v[0:1], off
	s_waitcnt vmcnt(1)
	v_subrev_u32_e32 v8, s8, v8
	v_ashrrev_i32_e32 v9, 31, v8
	v_lshlrev_b64 v[8:9], 3, v[8:9]
	v_add_co_u32_e32 v8, vcc, s6, v8
	v_addc_co_u32_e32 v9, vcc, v10, v9, vcc
	global_load_dwordx2 v[10:11], v[8:9], off
	s_waitcnt vmcnt(1)
	v_mul_f64 v[12:13], v[4:5], v[6:7]
	s_waitcnt vmcnt(0)
	v_mul_f64 v[4:5], v[4:5], v[10:11]
	v_fmac_f64_e32 v[4:5], v[2:3], v[6:7]
	v_fma_f64 v[10:11], v[2:3], v[10:11], -v[12:13]
	global_store_dwordx2 v[0:1], v[4:5], off
	global_store_dwordx2 v[8:9], v[10:11], off
.LBB2_7:
	s_endpgm
	.section	.rodata,"a",@progbits
	.p2align	6, 0x0
	.amdhsa_kernel _ZN9rocsparseL11roti_kernelILj512EidEEvT0_PT1_PKS1_S3_NS_24const_host_device_scalarIS2_EES7_21rocsparse_index_base_b
		.amdhsa_group_segment_fixed_size 0
		.amdhsa_private_segment_fixed_size 0
		.amdhsa_kernarg_size 56
		.amdhsa_user_sgpr_count 6
		.amdhsa_user_sgpr_private_segment_buffer 1
		.amdhsa_user_sgpr_dispatch_ptr 0
		.amdhsa_user_sgpr_queue_ptr 0
		.amdhsa_user_sgpr_kernarg_segment_ptr 1
		.amdhsa_user_sgpr_dispatch_id 0
		.amdhsa_user_sgpr_flat_scratch_init 0
		.amdhsa_user_sgpr_kernarg_preload_length 0
		.amdhsa_user_sgpr_kernarg_preload_offset 0
		.amdhsa_user_sgpr_private_segment_size 0
		.amdhsa_uses_dynamic_stack 0
		.amdhsa_system_sgpr_private_segment_wavefront_offset 0
		.amdhsa_system_sgpr_workgroup_id_x 1
		.amdhsa_system_sgpr_workgroup_id_y 0
		.amdhsa_system_sgpr_workgroup_id_z 0
		.amdhsa_system_sgpr_workgroup_info 0
		.amdhsa_system_vgpr_workitem_id 0
		.amdhsa_next_free_vgpr 14
		.amdhsa_next_free_sgpr 14
		.amdhsa_accum_offset 16
		.amdhsa_reserve_vcc 1
		.amdhsa_reserve_flat_scratch 0
		.amdhsa_float_round_mode_32 0
		.amdhsa_float_round_mode_16_64 0
		.amdhsa_float_denorm_mode_32 3
		.amdhsa_float_denorm_mode_16_64 3
		.amdhsa_dx10_clamp 1
		.amdhsa_ieee_mode 1
		.amdhsa_fp16_overflow 0
		.amdhsa_tg_split 0
		.amdhsa_exception_fp_ieee_invalid_op 0
		.amdhsa_exception_fp_denorm_src 0
		.amdhsa_exception_fp_ieee_div_zero 0
		.amdhsa_exception_fp_ieee_overflow 0
		.amdhsa_exception_fp_ieee_underflow 0
		.amdhsa_exception_fp_ieee_inexact 0
		.amdhsa_exception_int_div_zero 0
	.end_amdhsa_kernel
	.section	.text._ZN9rocsparseL11roti_kernelILj512EidEEvT0_PT1_PKS1_S3_NS_24const_host_device_scalarIS2_EES7_21rocsparse_index_base_b,"axG",@progbits,_ZN9rocsparseL11roti_kernelILj512EidEEvT0_PT1_PKS1_S3_NS_24const_host_device_scalarIS2_EES7_21rocsparse_index_base_b,comdat
.Lfunc_end2:
	.size	_ZN9rocsparseL11roti_kernelILj512EidEEvT0_PT1_PKS1_S3_NS_24const_host_device_scalarIS2_EES7_21rocsparse_index_base_b, .Lfunc_end2-_ZN9rocsparseL11roti_kernelILj512EidEEvT0_PT1_PKS1_S3_NS_24const_host_device_scalarIS2_EES7_21rocsparse_index_base_b
                                        ; -- End function
	.section	.AMDGPU.csdata,"",@progbits
; Kernel info:
; codeLenInByte = 332
; NumSgprs: 18
; NumVgprs: 14
; NumAgprs: 0
; TotalNumVgprs: 14
; ScratchSize: 0
; MemoryBound: 0
; FloatMode: 240
; IeeeMode: 1
; LDSByteSize: 0 bytes/workgroup (compile time only)
; SGPRBlocks: 2
; VGPRBlocks: 1
; NumSGPRsForWavesPerEU: 18
; NumVGPRsForWavesPerEU: 14
; AccumOffset: 16
; Occupancy: 8
; WaveLimiterHint : 1
; COMPUTE_PGM_RSRC2:SCRATCH_EN: 0
; COMPUTE_PGM_RSRC2:USER_SGPR: 6
; COMPUTE_PGM_RSRC2:TRAP_HANDLER: 0
; COMPUTE_PGM_RSRC2:TGID_X_EN: 1
; COMPUTE_PGM_RSRC2:TGID_Y_EN: 0
; COMPUTE_PGM_RSRC2:TGID_Z_EN: 0
; COMPUTE_PGM_RSRC2:TIDIG_COMP_CNT: 0
; COMPUTE_PGM_RSRC3_GFX90A:ACCUM_OFFSET: 3
; COMPUTE_PGM_RSRC3_GFX90A:TG_SPLIT: 0
	.section	.text._ZN9rocsparseL11roti_kernelILj512Ei21rocsparse_complex_numIdEEEvT0_PT1_PKS3_S5_NS_24const_host_device_scalarIS4_EES9_21rocsparse_index_base_b,"axG",@progbits,_ZN9rocsparseL11roti_kernelILj512Ei21rocsparse_complex_numIdEEEvT0_PT1_PKS3_S5_NS_24const_host_device_scalarIS4_EES9_21rocsparse_index_base_b,comdat
	.globl	_ZN9rocsparseL11roti_kernelILj512Ei21rocsparse_complex_numIdEEEvT0_PT1_PKS3_S5_NS_24const_host_device_scalarIS4_EES9_21rocsparse_index_base_b ; -- Begin function _ZN9rocsparseL11roti_kernelILj512Ei21rocsparse_complex_numIdEEEvT0_PT1_PKS3_S5_NS_24const_host_device_scalarIS4_EES9_21rocsparse_index_base_b
	.p2align	8
	.type	_ZN9rocsparseL11roti_kernelILj512Ei21rocsparse_complex_numIdEEEvT0_PT1_PKS3_S5_NS_24const_host_device_scalarIS4_EES9_21rocsparse_index_base_b,@function
_ZN9rocsparseL11roti_kernelILj512Ei21rocsparse_complex_numIdEEEvT0_PT1_PKS3_S5_NS_24const_host_device_scalarIS4_EES9_21rocsparse_index_base_b: ; @_ZN9rocsparseL11roti_kernelILj512Ei21rocsparse_complex_numIdEEEvT0_PT1_PKS3_S5_NS_24const_host_device_scalarIS4_EES9_21rocsparse_index_base_b
; %bb.0:
	s_load_dwordx2 s[2:3], s[6:7], 0x40
	s_load_dwordx8 s[12:19], s[6:7], 0x20
	s_mov_b64 s[10:11], src_shared_base
	s_load_dwordx2 s[4:5], s[4:5], 0x4
	v_and_b32_e32 v8, 0x3ff, v0
	s_waitcnt lgkmcnt(0)
	s_bitcmp1_b32 s3, 0
	s_cselect_b64 s[0:1], -1, 0
	s_and_b64 vcc, s[0:1], exec
	s_cselect_b32 s3, s11, s13
	s_lshr_b32 s4, s4, 16
	s_mul_i32 s4, s4, s5
	v_mul_lo_u32 v1, s4, v8
	v_bfe_u32 v2, v0, 10, 10
	v_mad_u32_u24 v1, v2, s5, v1
	v_bfe_u32 v0, v0, 20, 10
	v_add_lshl_u32 v4, v1, v0, 3
	v_mov_b32_e32 v5, s12
	v_add_u32_e32 v6, 0x1000, v4
	v_pk_mov_b32 v[0:1], s[12:13], s[12:13] op_sel:[0,1]
	v_pk_mov_b32 v[2:3], s[16:17], s[16:17] op_sel:[0,1]
	ds_write2st64_b64 v4, v[2:3], v[0:1] offset1:8
	v_cndmask_b32_e64 v0, v5, v6, s[0:1]
	v_mov_b32_e32 v1, s3
	flat_load_dwordx2 v[0:1], v[0:1]
	s_xor_b64 s[4:5], s[0:1], -1
	v_pk_mov_b32 v[2:3], s[14:15], s[14:15] op_sel:[0,1]
	s_cbranch_vccnz .LBB3_2
; %bb.1:
	v_pk_mov_b32 v[2:3], s[12:13], s[12:13] op_sel:[0,1]
	flat_load_dwordx2 v[2:3], v[2:3] offset:8
.LBB3_2:
	s_and_b64 s[12:13], s[0:1], exec
	s_cselect_b32 s3, s11, s17
	v_mov_b32_e32 v5, s16
	v_cndmask_b32_e64 v4, v5, v4, s[0:1]
	v_mov_b32_e32 v5, s3
	flat_load_dwordx2 v[4:5], v[4:5]
	s_andn2_b64 vcc, exec, s[4:5]
	v_pk_mov_b32 v[6:7], s[18:19], s[18:19] op_sel:[0,1]
	s_cbranch_vccnz .LBB3_4
; %bb.3:
	v_pk_mov_b32 v[6:7], s[16:17], s[16:17] op_sel:[0,1]
	flat_load_dwordx2 v[6:7], v[6:7] offset:8
.LBB3_4:
	s_waitcnt vmcnt(0) lgkmcnt(0)
	v_cmp_eq_f64_e32 vcc, 1.0, v[0:1]
	v_cmp_eq_f64_e64 s[0:1], 0, v[2:3]
	s_and_b64 s[10:11], vcc, s[0:1]
	s_mov_b64 s[0:1], -1
	s_and_saveexec_b64 s[4:5], s[10:11]
; %bb.5:
	v_cmp_neq_f64_e32 vcc, 0, v[4:5]
	v_cmp_neq_f64_e64 s[0:1], 0, v[6:7]
	s_or_b64 s[0:1], vcc, s[0:1]
	s_orn2_b64 s[0:1], s[0:1], exec
; %bb.6:
	s_or_b64 exec, exec, s[4:5]
	s_and_saveexec_b64 s[4:5], s[0:1]
	s_cbranch_execz .LBB3_9
; %bb.7:
	s_load_dword s0, s[6:7], 0x0
	v_lshl_or_b32 v8, s8, 9, v8
	s_waitcnt lgkmcnt(0)
	v_cmp_gt_i32_e32 vcc, s0, v8
	s_and_b64 exec, exec, vcc
	s_cbranch_execz .LBB3_9
; %bb.8:
	s_load_dwordx4 s[8:11], s[6:7], 0x8
	s_load_dwordx2 s[0:1], s[6:7], 0x18
	v_ashrrev_i32_e32 v9, 31, v8
	v_lshlrev_b64 v[10:11], 2, v[8:9]
	v_lshlrev_b64 v[8:9], 4, v[8:9]
	s_waitcnt lgkmcnt(0)
	v_mov_b32_e32 v12, s11
	v_add_co_u32_e32 v10, vcc, s10, v10
	v_addc_co_u32_e32 v11, vcc, v12, v11, vcc
	global_load_dword v12, v[10:11], off
	v_mov_b32_e32 v10, s9
	v_add_co_u32_e32 v16, vcc, s8, v8
	v_addc_co_u32_e32 v17, vcc, v10, v9, vcc
	v_mov_b32_e32 v14, s1
	global_load_dwordx4 v[8:11], v[16:17], off
	s_waitcnt vmcnt(1)
	v_subrev_u32_e32 v12, s2, v12
	v_ashrrev_i32_e32 v13, 31, v12
	v_lshlrev_b64 v[12:13], 4, v[12:13]
	v_add_co_u32_e32 v18, vcc, s0, v12
	v_addc_co_u32_e32 v19, vcc, v14, v13, vcc
	global_load_dwordx4 v[12:15], v[18:19], off
	s_waitcnt vmcnt(1)
	v_mul_f64 v[20:21], v[10:11], -v[2:3]
	v_mul_f64 v[22:23], v[0:1], v[10:11]
	v_mul_f64 v[24:25], v[10:11], -v[6:7]
	v_mul_f64 v[10:11], v[4:5], v[10:11]
	v_fmac_f64_e32 v[20:21], v[0:1], v[8:9]
	v_fmac_f64_e32 v[22:23], v[2:3], v[8:9]
	;; [unrolled: 1-line block ×4, first 2 shown]
	s_waitcnt vmcnt(0)
	v_mul_f64 v[8:9], v[14:15], -v[6:7]
	v_mul_f64 v[26:27], v[4:5], v[14:15]
	v_mul_f64 v[28:29], v[14:15], -v[2:3]
	v_mul_f64 v[14:15], v[0:1], v[14:15]
	v_fmac_f64_e32 v[8:9], v[4:5], v[12:13]
	v_fmac_f64_e32 v[26:27], v[6:7], v[12:13]
	;; [unrolled: 1-line block ×4, first 2 shown]
	v_add_f64 v[0:1], v[20:21], v[8:9]
	v_add_f64 v[2:3], v[22:23], v[26:27]
	v_add_f64 v[4:5], v[28:29], -v[24:25]
	v_add_f64 v[6:7], v[14:15], -v[10:11]
	global_store_dwordx4 v[16:17], v[0:3], off
	global_store_dwordx4 v[18:19], v[4:7], off
.LBB3_9:
	s_endpgm
	.section	.rodata,"a",@progbits
	.p2align	6, 0x0
	.amdhsa_kernel _ZN9rocsparseL11roti_kernelILj512Ei21rocsparse_complex_numIdEEEvT0_PT1_PKS3_S5_NS_24const_host_device_scalarIS4_EES9_21rocsparse_index_base_b
		.amdhsa_group_segment_fixed_size 8192
		.amdhsa_private_segment_fixed_size 0
		.amdhsa_kernarg_size 72
		.amdhsa_user_sgpr_count 8
		.amdhsa_user_sgpr_private_segment_buffer 1
		.amdhsa_user_sgpr_dispatch_ptr 1
		.amdhsa_user_sgpr_queue_ptr 0
		.amdhsa_user_sgpr_kernarg_segment_ptr 1
		.amdhsa_user_sgpr_dispatch_id 0
		.amdhsa_user_sgpr_flat_scratch_init 0
		.amdhsa_user_sgpr_kernarg_preload_length 0
		.amdhsa_user_sgpr_kernarg_preload_offset 0
		.amdhsa_user_sgpr_private_segment_size 0
		.amdhsa_uses_dynamic_stack 0
		.amdhsa_system_sgpr_private_segment_wavefront_offset 0
		.amdhsa_system_sgpr_workgroup_id_x 1
		.amdhsa_system_sgpr_workgroup_id_y 0
		.amdhsa_system_sgpr_workgroup_id_z 0
		.amdhsa_system_sgpr_workgroup_info 0
		.amdhsa_system_vgpr_workitem_id 2
		.amdhsa_next_free_vgpr 30
		.amdhsa_next_free_sgpr 20
		.amdhsa_accum_offset 32
		.amdhsa_reserve_vcc 1
		.amdhsa_reserve_flat_scratch 0
		.amdhsa_float_round_mode_32 0
		.amdhsa_float_round_mode_16_64 0
		.amdhsa_float_denorm_mode_32 3
		.amdhsa_float_denorm_mode_16_64 3
		.amdhsa_dx10_clamp 1
		.amdhsa_ieee_mode 1
		.amdhsa_fp16_overflow 0
		.amdhsa_tg_split 0
		.amdhsa_exception_fp_ieee_invalid_op 0
		.amdhsa_exception_fp_denorm_src 0
		.amdhsa_exception_fp_ieee_div_zero 0
		.amdhsa_exception_fp_ieee_overflow 0
		.amdhsa_exception_fp_ieee_underflow 0
		.amdhsa_exception_fp_ieee_inexact 0
		.amdhsa_exception_int_div_zero 0
	.end_amdhsa_kernel
	.section	.text._ZN9rocsparseL11roti_kernelILj512Ei21rocsparse_complex_numIdEEEvT0_PT1_PKS3_S5_NS_24const_host_device_scalarIS4_EES9_21rocsparse_index_base_b,"axG",@progbits,_ZN9rocsparseL11roti_kernelILj512Ei21rocsparse_complex_numIdEEEvT0_PT1_PKS3_S5_NS_24const_host_device_scalarIS4_EES9_21rocsparse_index_base_b,comdat
.Lfunc_end3:
	.size	_ZN9rocsparseL11roti_kernelILj512Ei21rocsparse_complex_numIdEEEvT0_PT1_PKS3_S5_NS_24const_host_device_scalarIS4_EES9_21rocsparse_index_base_b, .Lfunc_end3-_ZN9rocsparseL11roti_kernelILj512Ei21rocsparse_complex_numIdEEEvT0_PT1_PKS3_S5_NS_24const_host_device_scalarIS4_EES9_21rocsparse_index_base_b
                                        ; -- End function
	.section	.AMDGPU.csdata,"",@progbits
; Kernel info:
; codeLenInByte = 624
; NumSgprs: 24
; NumVgprs: 30
; NumAgprs: 0
; TotalNumVgprs: 30
; ScratchSize: 0
; MemoryBound: 0
; FloatMode: 240
; IeeeMode: 1
; LDSByteSize: 8192 bytes/workgroup (compile time only)
; SGPRBlocks: 2
; VGPRBlocks: 3
; NumSGPRsForWavesPerEU: 24
; NumVGPRsForWavesPerEU: 30
; AccumOffset: 32
; Occupancy: 8
; WaveLimiterHint : 1
; COMPUTE_PGM_RSRC2:SCRATCH_EN: 0
; COMPUTE_PGM_RSRC2:USER_SGPR: 8
; COMPUTE_PGM_RSRC2:TRAP_HANDLER: 0
; COMPUTE_PGM_RSRC2:TGID_X_EN: 1
; COMPUTE_PGM_RSRC2:TGID_Y_EN: 0
; COMPUTE_PGM_RSRC2:TGID_Z_EN: 0
; COMPUTE_PGM_RSRC2:TIDIG_COMP_CNT: 2
; COMPUTE_PGM_RSRC3_GFX90A:ACCUM_OFFSET: 7
; COMPUTE_PGM_RSRC3_GFX90A:TG_SPLIT: 0
	.section	.text._ZN9rocsparseL11roti_kernelILj512ElfEEvT0_PT1_PKS1_S3_NS_24const_host_device_scalarIS2_EES7_21rocsparse_index_base_b,"axG",@progbits,_ZN9rocsparseL11roti_kernelILj512ElfEEvT0_PT1_PKS1_S3_NS_24const_host_device_scalarIS2_EES7_21rocsparse_index_base_b,comdat
	.globl	_ZN9rocsparseL11roti_kernelILj512ElfEEvT0_PT1_PKS1_S3_NS_24const_host_device_scalarIS2_EES7_21rocsparse_index_base_b ; -- Begin function _ZN9rocsparseL11roti_kernelILj512ElfEEvT0_PT1_PKS1_S3_NS_24const_host_device_scalarIS2_EES7_21rocsparse_index_base_b
	.p2align	8
	.type	_ZN9rocsparseL11roti_kernelILj512ElfEEvT0_PT1_PKS1_S3_NS_24const_host_device_scalarIS2_EES7_21rocsparse_index_base_b,@function
_ZN9rocsparseL11roti_kernelILj512ElfEEvT0_PT1_PKS1_S3_NS_24const_host_device_scalarIS2_EES7_21rocsparse_index_base_b: ; @_ZN9rocsparseL11roti_kernelILj512ElfEEvT0_PT1_PKS1_S3_NS_24const_host_device_scalarIS2_EES7_21rocsparse_index_base_b
; %bb.0:
	s_load_dwordx2 s[8:9], s[4:5], 0x30
	s_load_dwordx4 s[0:3], s[4:5], 0x20
	s_waitcnt lgkmcnt(0)
	s_bitcmp1_b32 s9, 0
	s_cselect_b64 s[12:13], -1, 0
	s_xor_b64 s[10:11], s[12:13], -1
	s_and_b64 vcc, exec, s[12:13]
	s_cbranch_vccnz .LBB4_2
; %bb.1:
	s_load_dword s0, s[0:1], 0x0
.LBB4_2:
	s_andn2_b64 vcc, exec, s[10:11]
	s_cbranch_vccnz .LBB4_4
; %bb.3:
	s_load_dword s2, s[2:3], 0x0
.LBB4_4:
	s_waitcnt lgkmcnt(0)
	v_cmp_eq_f32_e64 s[10:11], s0, 1.0
	v_cmp_eq_f32_e64 s[12:13], s2, 0
	s_and_b64 s[10:11], s[10:11], s[12:13]
	s_and_b64 vcc, exec, s[10:11]
	s_cbranch_vccnz .LBB4_7
; %bb.5:
	s_load_dwordx2 s[10:11], s[4:5], 0x0
	v_lshl_or_b32 v0, s6, 9, v0
	v_mov_b32_e32 v1, 0
	s_waitcnt lgkmcnt(0)
	v_cmp_gt_i64_e32 vcc, s[10:11], v[0:1]
	s_and_saveexec_b64 s[6:7], vcc
	s_cbranch_execz .LBB4_7
; %bb.6:
	s_load_dwordx4 s[12:15], s[4:5], 0x8
	s_load_dwordx2 s[6:7], s[4:5], 0x18
	v_lshlrev_b64 v[2:3], 3, v[0:1]
	v_lshlrev_b64 v[0:1], 2, v[0:1]
	s_waitcnt lgkmcnt(0)
	v_mov_b32_e32 v4, s15
	v_add_co_u32_e32 v2, vcc, s14, v2
	v_addc_co_u32_e32 v3, vcc, v4, v3, vcc
	global_load_dwordx2 v[2:3], v[2:3], off
	v_mov_b32_e32 v4, s13
	v_add_co_u32_e32 v0, vcc, s12, v0
	v_addc_co_u32_e32 v1, vcc, v4, v1, vcc
	v_mov_b32_e32 v5, s7
	global_load_dword v4, v[0:1], off
	s_waitcnt vmcnt(1)
	v_subrev_co_u32_e32 v2, vcc, s8, v2
	v_subbrev_co_u32_e32 v3, vcc, 0, v3, vcc
	v_lshlrev_b64 v[2:3], 2, v[2:3]
	v_add_co_u32_e32 v2, vcc, s6, v2
	v_addc_co_u32_e32 v3, vcc, v5, v3, vcc
	global_load_dword v5, v[2:3], off
	s_waitcnt vmcnt(1)
	v_mul_f32_e32 v6, s2, v4
	s_waitcnt vmcnt(0)
	v_mul_f32_e32 v7, s2, v5
	v_fmac_f32_e32 v7, s0, v4
	v_fma_f32 v5, s0, v5, -v6
	global_store_dword v[0:1], v7, off
	global_store_dword v[2:3], v5, off
.LBB4_7:
	s_endpgm
	.section	.rodata,"a",@progbits
	.p2align	6, 0x0
	.amdhsa_kernel _ZN9rocsparseL11roti_kernelILj512ElfEEvT0_PT1_PKS1_S3_NS_24const_host_device_scalarIS2_EES7_21rocsparse_index_base_b
		.amdhsa_group_segment_fixed_size 0
		.amdhsa_private_segment_fixed_size 0
		.amdhsa_kernarg_size 56
		.amdhsa_user_sgpr_count 6
		.amdhsa_user_sgpr_private_segment_buffer 1
		.amdhsa_user_sgpr_dispatch_ptr 0
		.amdhsa_user_sgpr_queue_ptr 0
		.amdhsa_user_sgpr_kernarg_segment_ptr 1
		.amdhsa_user_sgpr_dispatch_id 0
		.amdhsa_user_sgpr_flat_scratch_init 0
		.amdhsa_user_sgpr_kernarg_preload_length 0
		.amdhsa_user_sgpr_kernarg_preload_offset 0
		.amdhsa_user_sgpr_private_segment_size 0
		.amdhsa_uses_dynamic_stack 0
		.amdhsa_system_sgpr_private_segment_wavefront_offset 0
		.amdhsa_system_sgpr_workgroup_id_x 1
		.amdhsa_system_sgpr_workgroup_id_y 0
		.amdhsa_system_sgpr_workgroup_id_z 0
		.amdhsa_system_sgpr_workgroup_info 0
		.amdhsa_system_vgpr_workitem_id 0
		.amdhsa_next_free_vgpr 8
		.amdhsa_next_free_sgpr 16
		.amdhsa_accum_offset 8
		.amdhsa_reserve_vcc 1
		.amdhsa_reserve_flat_scratch 0
		.amdhsa_float_round_mode_32 0
		.amdhsa_float_round_mode_16_64 0
		.amdhsa_float_denorm_mode_32 3
		.amdhsa_float_denorm_mode_16_64 3
		.amdhsa_dx10_clamp 1
		.amdhsa_ieee_mode 1
		.amdhsa_fp16_overflow 0
		.amdhsa_tg_split 0
		.amdhsa_exception_fp_ieee_invalid_op 0
		.amdhsa_exception_fp_denorm_src 0
		.amdhsa_exception_fp_ieee_div_zero 0
		.amdhsa_exception_fp_ieee_overflow 0
		.amdhsa_exception_fp_ieee_underflow 0
		.amdhsa_exception_fp_ieee_inexact 0
		.amdhsa_exception_int_div_zero 0
	.end_amdhsa_kernel
	.section	.text._ZN9rocsparseL11roti_kernelILj512ElfEEvT0_PT1_PKS1_S3_NS_24const_host_device_scalarIS2_EES7_21rocsparse_index_base_b,"axG",@progbits,_ZN9rocsparseL11roti_kernelILj512ElfEEvT0_PT1_PKS1_S3_NS_24const_host_device_scalarIS2_EES7_21rocsparse_index_base_b,comdat
.Lfunc_end4:
	.size	_ZN9rocsparseL11roti_kernelILj512ElfEEvT0_PT1_PKS1_S3_NS_24const_host_device_scalarIS2_EES7_21rocsparse_index_base_b, .Lfunc_end4-_ZN9rocsparseL11roti_kernelILj512ElfEEvT0_PT1_PKS1_S3_NS_24const_host_device_scalarIS2_EES7_21rocsparse_index_base_b
                                        ; -- End function
	.section	.AMDGPU.csdata,"",@progbits
; Kernel info:
; codeLenInByte = 296
; NumSgprs: 20
; NumVgprs: 8
; NumAgprs: 0
; TotalNumVgprs: 8
; ScratchSize: 0
; MemoryBound: 0
; FloatMode: 240
; IeeeMode: 1
; LDSByteSize: 0 bytes/workgroup (compile time only)
; SGPRBlocks: 2
; VGPRBlocks: 0
; NumSGPRsForWavesPerEU: 20
; NumVGPRsForWavesPerEU: 8
; AccumOffset: 8
; Occupancy: 8
; WaveLimiterHint : 1
; COMPUTE_PGM_RSRC2:SCRATCH_EN: 0
; COMPUTE_PGM_RSRC2:USER_SGPR: 6
; COMPUTE_PGM_RSRC2:TRAP_HANDLER: 0
; COMPUTE_PGM_RSRC2:TGID_X_EN: 1
; COMPUTE_PGM_RSRC2:TGID_Y_EN: 0
; COMPUTE_PGM_RSRC2:TGID_Z_EN: 0
; COMPUTE_PGM_RSRC2:TIDIG_COMP_CNT: 0
; COMPUTE_PGM_RSRC3_GFX90A:ACCUM_OFFSET: 1
; COMPUTE_PGM_RSRC3_GFX90A:TG_SPLIT: 0
	.section	.text._ZN9rocsparseL11roti_kernelILj512El21rocsparse_complex_numIfEEEvT0_PT1_PKS3_S5_NS_24const_host_device_scalarIS4_EES9_21rocsparse_index_base_b,"axG",@progbits,_ZN9rocsparseL11roti_kernelILj512El21rocsparse_complex_numIfEEEvT0_PT1_PKS3_S5_NS_24const_host_device_scalarIS4_EES9_21rocsparse_index_base_b,comdat
	.globl	_ZN9rocsparseL11roti_kernelILj512El21rocsparse_complex_numIfEEEvT0_PT1_PKS3_S5_NS_24const_host_device_scalarIS4_EES9_21rocsparse_index_base_b ; -- Begin function _ZN9rocsparseL11roti_kernelILj512El21rocsparse_complex_numIfEEEvT0_PT1_PKS3_S5_NS_24const_host_device_scalarIS4_EES9_21rocsparse_index_base_b
	.p2align	8
	.type	_ZN9rocsparseL11roti_kernelILj512El21rocsparse_complex_numIfEEEvT0_PT1_PKS3_S5_NS_24const_host_device_scalarIS4_EES9_21rocsparse_index_base_b,@function
_ZN9rocsparseL11roti_kernelILj512El21rocsparse_complex_numIfEEEvT0_PT1_PKS3_S5_NS_24const_host_device_scalarIS4_EES9_21rocsparse_index_base_b: ; @_ZN9rocsparseL11roti_kernelILj512El21rocsparse_complex_numIfEEEvT0_PT1_PKS3_S5_NS_24const_host_device_scalarIS4_EES9_21rocsparse_index_base_b
; %bb.0:
	s_load_dwordx2 s[2:3], s[4:5], 0x30
	s_load_dwordx4 s[8:11], s[4:5], 0x20
	s_load_dwordx2 s[12:13], s[4:5], 0x20
	s_waitcnt lgkmcnt(0)
	s_bitcmp1_b32 s3, 0
	s_cselect_b64 s[0:1], -1, 0
	s_xor_b64 s[14:15], s[0:1], -1
	s_and_b64 vcc, exec, s[0:1]
	v_mov_b32_e32 v1, s12
	s_cbranch_vccnz .LBB5_2
; %bb.1:
	v_pk_mov_b32 v[2:3], s[8:9], s[8:9] op_sel:[0,1]
	flat_load_dword v1, v[2:3]
.LBB5_2:
	v_cndmask_b32_e64 v2, 0, 1, s[14:15]
	v_cmp_ne_u32_e64 s[0:1], 1, v2
	s_andn2_b64 vcc, exec, s[14:15]
	v_mov_b32_e32 v3, s13
	s_cbranch_vccz .LBB5_12
; %bb.3:
	s_and_b64 vcc, exec, s[0:1]
	v_mov_b32_e32 v4, s10
	s_cbranch_vccz .LBB5_13
.LBB5_4:
	s_and_b64 vcc, exec, s[0:1]
	v_mov_b32_e32 v5, s11
	s_cbranch_vccnz .LBB5_6
.LBB5_5:
	v_pk_mov_b32 v[6:7], s[10:11], s[10:11] op_sel:[0,1]
	flat_load_dword v5, v[6:7] offset:4
.LBB5_6:
	s_waitcnt vmcnt(0) lgkmcnt(0)
	v_cmp_eq_f32_e32 vcc, 1.0, v1
	v_cmp_eq_f32_e64 s[0:1], 0, v3
	s_and_b64 s[10:11], vcc, s[0:1]
	s_mov_b64 s[0:1], -1
	s_and_saveexec_b64 s[8:9], s[10:11]
; %bb.7:
	v_or_b32_e32 v2, v4, v5
	v_and_b32_e32 v2, 0x7fffffff, v2
	v_cmp_ne_u32_e32 vcc, 0, v2
	s_orn2_b64 s[0:1], vcc, exec
; %bb.8:
	s_or_b64 exec, exec, s[8:9]
	s_and_saveexec_b64 s[8:9], s[0:1]
	s_cbranch_execz .LBB5_11
; %bb.9:
	s_load_dwordx2 s[0:1], s[4:5], 0x0
	v_lshl_or_b32 v6, s6, 9, v0
	v_mov_b32_e32 v7, 0
	s_waitcnt lgkmcnt(0)
	v_cmp_gt_i64_e32 vcc, s[0:1], v[6:7]
	s_and_b64 exec, exec, vcc
	s_cbranch_execz .LBB5_11
; %bb.10:
	s_load_dwordx4 s[8:11], s[4:5], 0x8
	s_load_dwordx2 s[0:1], s[4:5], 0x18
	v_lshlrev_b64 v[6:7], 3, v[6:7]
	v_xor_b32_e32 v14, 0x80000000, v5
	v_mov_b32_e32 v15, v4
	s_waitcnt lgkmcnt(0)
	v_mov_b32_e32 v0, s11
	v_add_co_u32_e32 v8, vcc, s10, v6
	v_addc_co_u32_e32 v9, vcc, v0, v7, vcc
	global_load_dwordx2 v[8:9], v[8:9], off
	v_mov_b32_e32 v0, s9
	v_add_co_u32_e32 v6, vcc, s8, v6
	v_addc_co_u32_e32 v7, vcc, v0, v7, vcc
	v_mov_b32_e32 v2, s1
	global_load_dwordx2 v[10:11], v[6:7], off
	v_xor_b32_e32 v0, 0x80000000, v3
	s_waitcnt vmcnt(1)
	v_subrev_co_u32_e32 v8, vcc, s2, v8
	v_subbrev_co_u32_e32 v9, vcc, 0, v9, vcc
	v_lshlrev_b64 v[8:9], 3, v[8:9]
	v_add_co_u32_e32 v8, vcc, s0, v8
	v_addc_co_u32_e32 v9, vcc, v2, v9, vcc
	global_load_dwordx2 v[12:13], v[8:9], off
	v_mov_b32_e32 v2, v1
	s_waitcnt vmcnt(1)
	v_pk_mul_f32 v[16:17], v[10:11], v[0:1] op_sel:[1,0]
	v_pk_mul_f32 v[18:19], v[10:11], v[14:15] op_sel:[1,0]
	v_pk_fma_f32 v[16:17], v[2:3], v[10:11], v[16:17] op_sel_hi:[1,0,1]
	v_pk_fma_f32 v[10:11], v[4:5], v[10:11], v[18:19] op_sel_hi:[1,0,1]
	s_waitcnt vmcnt(0)
	v_pk_mul_f32 v[14:15], v[12:13], v[14:15] op_sel:[1,0]
	v_pk_mul_f32 v[0:1], v[12:13], v[0:1] op_sel:[1,0]
	v_pk_fma_f32 v[4:5], v[4:5], v[12:13], v[14:15] op_sel_hi:[1,0,1]
	v_pk_fma_f32 v[0:1], v[2:3], v[12:13], v[0:1] op_sel_hi:[1,0,1]
	v_pk_add_f32 v[2:3], v[16:17], v[4:5]
	v_pk_add_f32 v[0:1], v[0:1], v[10:11] neg_lo:[0,1] neg_hi:[0,1]
	global_store_dwordx2 v[6:7], v[2:3], off
	global_store_dwordx2 v[8:9], v[0:1], off
.LBB5_11:
	s_endpgm
.LBB5_12:
	v_pk_mov_b32 v[2:3], s[8:9], s[8:9] op_sel:[0,1]
	flat_load_dword v3, v[2:3] offset:4
	s_and_b64 vcc, exec, s[0:1]
	v_mov_b32_e32 v4, s10
	s_cbranch_vccnz .LBB5_4
.LBB5_13:
	v_pk_mov_b32 v[4:5], s[10:11], s[10:11] op_sel:[0,1]
	flat_load_dword v4, v[4:5]
	s_and_b64 vcc, exec, s[0:1]
	v_mov_b32_e32 v5, s11
	s_cbranch_vccz .LBB5_5
	s_branch .LBB5_6
	.section	.rodata,"a",@progbits
	.p2align	6, 0x0
	.amdhsa_kernel _ZN9rocsparseL11roti_kernelILj512El21rocsparse_complex_numIfEEEvT0_PT1_PKS3_S5_NS_24const_host_device_scalarIS4_EES9_21rocsparse_index_base_b
		.amdhsa_group_segment_fixed_size 0
		.amdhsa_private_segment_fixed_size 0
		.amdhsa_kernarg_size 56
		.amdhsa_user_sgpr_count 6
		.amdhsa_user_sgpr_private_segment_buffer 1
		.amdhsa_user_sgpr_dispatch_ptr 0
		.amdhsa_user_sgpr_queue_ptr 0
		.amdhsa_user_sgpr_kernarg_segment_ptr 1
		.amdhsa_user_sgpr_dispatch_id 0
		.amdhsa_user_sgpr_flat_scratch_init 0
		.amdhsa_user_sgpr_kernarg_preload_length 0
		.amdhsa_user_sgpr_kernarg_preload_offset 0
		.amdhsa_user_sgpr_private_segment_size 0
		.amdhsa_uses_dynamic_stack 0
		.amdhsa_system_sgpr_private_segment_wavefront_offset 0
		.amdhsa_system_sgpr_workgroup_id_x 1
		.amdhsa_system_sgpr_workgroup_id_y 0
		.amdhsa_system_sgpr_workgroup_id_z 0
		.amdhsa_system_sgpr_workgroup_info 0
		.amdhsa_system_vgpr_workitem_id 0
		.amdhsa_next_free_vgpr 20
		.amdhsa_next_free_sgpr 16
		.amdhsa_accum_offset 20
		.amdhsa_reserve_vcc 1
		.amdhsa_reserve_flat_scratch 0
		.amdhsa_float_round_mode_32 0
		.amdhsa_float_round_mode_16_64 0
		.amdhsa_float_denorm_mode_32 3
		.amdhsa_float_denorm_mode_16_64 3
		.amdhsa_dx10_clamp 1
		.amdhsa_ieee_mode 1
		.amdhsa_fp16_overflow 0
		.amdhsa_tg_split 0
		.amdhsa_exception_fp_ieee_invalid_op 0
		.amdhsa_exception_fp_denorm_src 0
		.amdhsa_exception_fp_ieee_div_zero 0
		.amdhsa_exception_fp_ieee_overflow 0
		.amdhsa_exception_fp_ieee_underflow 0
		.amdhsa_exception_fp_ieee_inexact 0
		.amdhsa_exception_int_div_zero 0
	.end_amdhsa_kernel
	.section	.text._ZN9rocsparseL11roti_kernelILj512El21rocsparse_complex_numIfEEEvT0_PT1_PKS3_S5_NS_24const_host_device_scalarIS4_EES9_21rocsparse_index_base_b,"axG",@progbits,_ZN9rocsparseL11roti_kernelILj512El21rocsparse_complex_numIfEEEvT0_PT1_PKS3_S5_NS_24const_host_device_scalarIS4_EES9_21rocsparse_index_base_b,comdat
.Lfunc_end5:
	.size	_ZN9rocsparseL11roti_kernelILj512El21rocsparse_complex_numIfEEEvT0_PT1_PKS3_S5_NS_24const_host_device_scalarIS4_EES9_21rocsparse_index_base_b, .Lfunc_end5-_ZN9rocsparseL11roti_kernelILj512El21rocsparse_complex_numIfEEEvT0_PT1_PKS3_S5_NS_24const_host_device_scalarIS4_EES9_21rocsparse_index_base_b
                                        ; -- End function
	.section	.AMDGPU.csdata,"",@progbits
; Kernel info:
; codeLenInByte = 532
; NumSgprs: 20
; NumVgprs: 20
; NumAgprs: 0
; TotalNumVgprs: 20
; ScratchSize: 0
; MemoryBound: 0
; FloatMode: 240
; IeeeMode: 1
; LDSByteSize: 0 bytes/workgroup (compile time only)
; SGPRBlocks: 2
; VGPRBlocks: 2
; NumSGPRsForWavesPerEU: 20
; NumVGPRsForWavesPerEU: 20
; AccumOffset: 20
; Occupancy: 8
; WaveLimiterHint : 1
; COMPUTE_PGM_RSRC2:SCRATCH_EN: 0
; COMPUTE_PGM_RSRC2:USER_SGPR: 6
; COMPUTE_PGM_RSRC2:TRAP_HANDLER: 0
; COMPUTE_PGM_RSRC2:TGID_X_EN: 1
; COMPUTE_PGM_RSRC2:TGID_Y_EN: 0
; COMPUTE_PGM_RSRC2:TGID_Z_EN: 0
; COMPUTE_PGM_RSRC2:TIDIG_COMP_CNT: 0
; COMPUTE_PGM_RSRC3_GFX90A:ACCUM_OFFSET: 4
; COMPUTE_PGM_RSRC3_GFX90A:TG_SPLIT: 0
	.section	.text._ZN9rocsparseL11roti_kernelILj512EldEEvT0_PT1_PKS1_S3_NS_24const_host_device_scalarIS2_EES7_21rocsparse_index_base_b,"axG",@progbits,_ZN9rocsparseL11roti_kernelILj512EldEEvT0_PT1_PKS1_S3_NS_24const_host_device_scalarIS2_EES7_21rocsparse_index_base_b,comdat
	.globl	_ZN9rocsparseL11roti_kernelILj512EldEEvT0_PT1_PKS1_S3_NS_24const_host_device_scalarIS2_EES7_21rocsparse_index_base_b ; -- Begin function _ZN9rocsparseL11roti_kernelILj512EldEEvT0_PT1_PKS1_S3_NS_24const_host_device_scalarIS2_EES7_21rocsparse_index_base_b
	.p2align	8
	.type	_ZN9rocsparseL11roti_kernelILj512EldEEvT0_PT1_PKS1_S3_NS_24const_host_device_scalarIS2_EES7_21rocsparse_index_base_b,@function
_ZN9rocsparseL11roti_kernelILj512EldEEvT0_PT1_PKS1_S3_NS_24const_host_device_scalarIS2_EES7_21rocsparse_index_base_b: ; @_ZN9rocsparseL11roti_kernelILj512EldEEvT0_PT1_PKS1_S3_NS_24const_host_device_scalarIS2_EES7_21rocsparse_index_base_b
; %bb.0:
	s_load_dwordx2 s[8:9], s[4:5], 0x30
	s_load_dwordx4 s[0:3], s[4:5], 0x20
	s_waitcnt lgkmcnt(0)
	s_bitcmp1_b32 s9, 0
	s_cselect_b64 s[12:13], -1, 0
	s_xor_b64 s[10:11], s[12:13], -1
	s_and_b64 vcc, exec, s[12:13]
	v_pk_mov_b32 v[2:3], s[0:1], s[0:1] op_sel:[0,1]
	s_cbranch_vccnz .LBB6_2
; %bb.1:
	v_pk_mov_b32 v[2:3], s[0:1], s[0:1] op_sel:[0,1]
	flat_load_dwordx2 v[2:3], v[2:3]
.LBB6_2:
	s_andn2_b64 vcc, exec, s[10:11]
	v_pk_mov_b32 v[4:5], s[2:3], s[2:3] op_sel:[0,1]
	s_cbranch_vccnz .LBB6_4
; %bb.3:
	v_pk_mov_b32 v[4:5], s[2:3], s[2:3] op_sel:[0,1]
	flat_load_dwordx2 v[4:5], v[4:5]
.LBB6_4:
	s_waitcnt vmcnt(0) lgkmcnt(0)
	v_cmp_neq_f64_e32 vcc, 1.0, v[2:3]
	v_cmp_neq_f64_e64 s[0:1], 0, v[4:5]
	s_or_b64 s[0:1], vcc, s[0:1]
	s_and_saveexec_b64 s[2:3], s[0:1]
	s_cbranch_execz .LBB6_7
; %bb.5:
	s_load_dwordx2 s[0:1], s[4:5], 0x0
	v_lshl_or_b32 v0, s6, 9, v0
	v_mov_b32_e32 v1, 0
	s_waitcnt lgkmcnt(0)
	v_cmp_gt_i64_e32 vcc, s[0:1], v[0:1]
	s_and_b64 exec, exec, vcc
	s_cbranch_execz .LBB6_7
; %bb.6:
	s_load_dwordx4 s[0:3], s[4:5], 0x8
	s_load_dwordx2 s[6:7], s[4:5], 0x18
	v_lshlrev_b64 v[0:1], 3, v[0:1]
	s_waitcnt lgkmcnt(0)
	v_mov_b32_e32 v7, s3
	v_add_co_u32_e32 v6, vcc, s2, v0
	v_addc_co_u32_e32 v7, vcc, v7, v1, vcc
	global_load_dwordx2 v[6:7], v[6:7], off
	v_mov_b32_e32 v8, s1
	v_add_co_u32_e32 v0, vcc, s0, v0
	v_addc_co_u32_e32 v1, vcc, v8, v1, vcc
	v_mov_b32_e32 v10, s7
	global_load_dwordx2 v[8:9], v[0:1], off
	s_waitcnt vmcnt(1)
	v_subrev_co_u32_e32 v6, vcc, s8, v6
	v_subbrev_co_u32_e32 v7, vcc, 0, v7, vcc
	v_lshlrev_b64 v[6:7], 3, v[6:7]
	v_add_co_u32_e32 v6, vcc, s6, v6
	v_addc_co_u32_e32 v7, vcc, v10, v7, vcc
	global_load_dwordx2 v[10:11], v[6:7], off
	s_waitcnt vmcnt(1)
	v_mul_f64 v[12:13], v[4:5], v[8:9]
	s_waitcnt vmcnt(0)
	v_mul_f64 v[4:5], v[4:5], v[10:11]
	v_fmac_f64_e32 v[4:5], v[2:3], v[8:9]
	v_fma_f64 v[10:11], v[2:3], v[10:11], -v[12:13]
	global_store_dwordx2 v[0:1], v[4:5], off
	global_store_dwordx2 v[6:7], v[10:11], off
.LBB6_7:
	s_endpgm
	.section	.rodata,"a",@progbits
	.p2align	6, 0x0
	.amdhsa_kernel _ZN9rocsparseL11roti_kernelILj512EldEEvT0_PT1_PKS1_S3_NS_24const_host_device_scalarIS2_EES7_21rocsparse_index_base_b
		.amdhsa_group_segment_fixed_size 0
		.amdhsa_private_segment_fixed_size 0
		.amdhsa_kernarg_size 56
		.amdhsa_user_sgpr_count 6
		.amdhsa_user_sgpr_private_segment_buffer 1
		.amdhsa_user_sgpr_dispatch_ptr 0
		.amdhsa_user_sgpr_queue_ptr 0
		.amdhsa_user_sgpr_kernarg_segment_ptr 1
		.amdhsa_user_sgpr_dispatch_id 0
		.amdhsa_user_sgpr_flat_scratch_init 0
		.amdhsa_user_sgpr_kernarg_preload_length 0
		.amdhsa_user_sgpr_kernarg_preload_offset 0
		.amdhsa_user_sgpr_private_segment_size 0
		.amdhsa_uses_dynamic_stack 0
		.amdhsa_system_sgpr_private_segment_wavefront_offset 0
		.amdhsa_system_sgpr_workgroup_id_x 1
		.amdhsa_system_sgpr_workgroup_id_y 0
		.amdhsa_system_sgpr_workgroup_id_z 0
		.amdhsa_system_sgpr_workgroup_info 0
		.amdhsa_system_vgpr_workitem_id 0
		.amdhsa_next_free_vgpr 14
		.amdhsa_next_free_sgpr 14
		.amdhsa_accum_offset 16
		.amdhsa_reserve_vcc 1
		.amdhsa_reserve_flat_scratch 0
		.amdhsa_float_round_mode_32 0
		.amdhsa_float_round_mode_16_64 0
		.amdhsa_float_denorm_mode_32 3
		.amdhsa_float_denorm_mode_16_64 3
		.amdhsa_dx10_clamp 1
		.amdhsa_ieee_mode 1
		.amdhsa_fp16_overflow 0
		.amdhsa_tg_split 0
		.amdhsa_exception_fp_ieee_invalid_op 0
		.amdhsa_exception_fp_denorm_src 0
		.amdhsa_exception_fp_ieee_div_zero 0
		.amdhsa_exception_fp_ieee_overflow 0
		.amdhsa_exception_fp_ieee_underflow 0
		.amdhsa_exception_fp_ieee_inexact 0
		.amdhsa_exception_int_div_zero 0
	.end_amdhsa_kernel
	.section	.text._ZN9rocsparseL11roti_kernelILj512EldEEvT0_PT1_PKS1_S3_NS_24const_host_device_scalarIS2_EES7_21rocsparse_index_base_b,"axG",@progbits,_ZN9rocsparseL11roti_kernelILj512EldEEvT0_PT1_PKS1_S3_NS_24const_host_device_scalarIS2_EES7_21rocsparse_index_base_b,comdat
.Lfunc_end6:
	.size	_ZN9rocsparseL11roti_kernelILj512EldEEvT0_PT1_PKS1_S3_NS_24const_host_device_scalarIS2_EES7_21rocsparse_index_base_b, .Lfunc_end6-_ZN9rocsparseL11roti_kernelILj512EldEEvT0_PT1_PKS1_S3_NS_24const_host_device_scalarIS2_EES7_21rocsparse_index_base_b
                                        ; -- End function
	.section	.AMDGPU.csdata,"",@progbits
; Kernel info:
; codeLenInByte = 324
; NumSgprs: 18
; NumVgprs: 14
; NumAgprs: 0
; TotalNumVgprs: 14
; ScratchSize: 0
; MemoryBound: 0
; FloatMode: 240
; IeeeMode: 1
; LDSByteSize: 0 bytes/workgroup (compile time only)
; SGPRBlocks: 2
; VGPRBlocks: 1
; NumSGPRsForWavesPerEU: 18
; NumVGPRsForWavesPerEU: 14
; AccumOffset: 16
; Occupancy: 8
; WaveLimiterHint : 1
; COMPUTE_PGM_RSRC2:SCRATCH_EN: 0
; COMPUTE_PGM_RSRC2:USER_SGPR: 6
; COMPUTE_PGM_RSRC2:TRAP_HANDLER: 0
; COMPUTE_PGM_RSRC2:TGID_X_EN: 1
; COMPUTE_PGM_RSRC2:TGID_Y_EN: 0
; COMPUTE_PGM_RSRC2:TGID_Z_EN: 0
; COMPUTE_PGM_RSRC2:TIDIG_COMP_CNT: 0
; COMPUTE_PGM_RSRC3_GFX90A:ACCUM_OFFSET: 3
; COMPUTE_PGM_RSRC3_GFX90A:TG_SPLIT: 0
	.section	.text._ZN9rocsparseL11roti_kernelILj512El21rocsparse_complex_numIdEEEvT0_PT1_PKS3_S5_NS_24const_host_device_scalarIS4_EES9_21rocsparse_index_base_b,"axG",@progbits,_ZN9rocsparseL11roti_kernelILj512El21rocsparse_complex_numIdEEEvT0_PT1_PKS3_S5_NS_24const_host_device_scalarIS4_EES9_21rocsparse_index_base_b,comdat
	.globl	_ZN9rocsparseL11roti_kernelILj512El21rocsparse_complex_numIdEEEvT0_PT1_PKS3_S5_NS_24const_host_device_scalarIS4_EES9_21rocsparse_index_base_b ; -- Begin function _ZN9rocsparseL11roti_kernelILj512El21rocsparse_complex_numIdEEEvT0_PT1_PKS3_S5_NS_24const_host_device_scalarIS4_EES9_21rocsparse_index_base_b
	.p2align	8
	.type	_ZN9rocsparseL11roti_kernelILj512El21rocsparse_complex_numIdEEEvT0_PT1_PKS3_S5_NS_24const_host_device_scalarIS4_EES9_21rocsparse_index_base_b,@function
_ZN9rocsparseL11roti_kernelILj512El21rocsparse_complex_numIdEEEvT0_PT1_PKS3_S5_NS_24const_host_device_scalarIS4_EES9_21rocsparse_index_base_b: ; @_ZN9rocsparseL11roti_kernelILj512El21rocsparse_complex_numIdEEEvT0_PT1_PKS3_S5_NS_24const_host_device_scalarIS4_EES9_21rocsparse_index_base_b
; %bb.0:
	s_load_dwordx2 s[2:3], s[6:7], 0x40
	s_load_dwordx8 s[12:19], s[6:7], 0x20
	s_mov_b64 s[10:11], src_shared_base
	s_load_dwordx2 s[4:5], s[4:5], 0x4
	v_and_b32_e32 v8, 0x3ff, v0
	s_waitcnt lgkmcnt(0)
	s_bitcmp1_b32 s3, 0
	s_cselect_b64 s[0:1], -1, 0
	s_and_b64 vcc, s[0:1], exec
	s_cselect_b32 s3, s11, s13
	s_lshr_b32 s4, s4, 16
	s_mul_i32 s4, s4, s5
	v_mul_lo_u32 v1, s4, v8
	v_bfe_u32 v2, v0, 10, 10
	v_mad_u32_u24 v1, v2, s5, v1
	v_bfe_u32 v0, v0, 20, 10
	v_add_lshl_u32 v4, v1, v0, 3
	v_mov_b32_e32 v5, s12
	v_add_u32_e32 v6, 0x1000, v4
	v_pk_mov_b32 v[0:1], s[12:13], s[12:13] op_sel:[0,1]
	v_pk_mov_b32 v[2:3], s[16:17], s[16:17] op_sel:[0,1]
	ds_write2st64_b64 v4, v[2:3], v[0:1] offset1:8
	v_cndmask_b32_e64 v0, v5, v6, s[0:1]
	v_mov_b32_e32 v1, s3
	flat_load_dwordx2 v[0:1], v[0:1]
	s_xor_b64 s[4:5], s[0:1], -1
	v_pk_mov_b32 v[2:3], s[14:15], s[14:15] op_sel:[0,1]
	s_cbranch_vccnz .LBB7_2
; %bb.1:
	v_pk_mov_b32 v[2:3], s[12:13], s[12:13] op_sel:[0,1]
	flat_load_dwordx2 v[2:3], v[2:3] offset:8
.LBB7_2:
	s_and_b64 s[12:13], s[0:1], exec
	s_cselect_b32 s3, s11, s17
	v_mov_b32_e32 v5, s16
	v_cndmask_b32_e64 v4, v5, v4, s[0:1]
	v_mov_b32_e32 v5, s3
	flat_load_dwordx2 v[4:5], v[4:5]
	s_andn2_b64 vcc, exec, s[4:5]
	v_pk_mov_b32 v[6:7], s[18:19], s[18:19] op_sel:[0,1]
	s_cbranch_vccnz .LBB7_4
; %bb.3:
	v_pk_mov_b32 v[6:7], s[16:17], s[16:17] op_sel:[0,1]
	flat_load_dwordx2 v[6:7], v[6:7] offset:8
.LBB7_4:
	s_waitcnt vmcnt(0) lgkmcnt(0)
	v_cmp_eq_f64_e32 vcc, 1.0, v[0:1]
	v_cmp_eq_f64_e64 s[0:1], 0, v[2:3]
	s_and_b64 s[10:11], vcc, s[0:1]
	s_mov_b64 s[0:1], -1
	s_and_saveexec_b64 s[4:5], s[10:11]
; %bb.5:
	v_cmp_neq_f64_e32 vcc, 0, v[4:5]
	v_cmp_neq_f64_e64 s[0:1], 0, v[6:7]
	s_or_b64 s[0:1], vcc, s[0:1]
	s_orn2_b64 s[0:1], s[0:1], exec
; %bb.6:
	s_or_b64 exec, exec, s[4:5]
	s_and_saveexec_b64 s[4:5], s[0:1]
	s_cbranch_execz .LBB7_9
; %bb.7:
	s_load_dwordx2 s[0:1], s[6:7], 0x0
	v_lshl_or_b32 v8, s8, 9, v8
	v_mov_b32_e32 v9, 0
	s_waitcnt lgkmcnt(0)
	v_cmp_gt_i64_e32 vcc, s[0:1], v[8:9]
	s_and_b64 exec, exec, vcc
	s_cbranch_execz .LBB7_9
; %bb.8:
	s_load_dwordx4 s[8:11], s[6:7], 0x8
	s_load_dwordx2 s[0:1], s[6:7], 0x18
	v_lshlrev_b64 v[10:11], 3, v[8:9]
	v_lshlrev_b64 v[8:9], 4, v[8:9]
	s_waitcnt lgkmcnt(0)
	v_mov_b32_e32 v12, s11
	v_add_co_u32_e32 v10, vcc, s10, v10
	v_addc_co_u32_e32 v11, vcc, v12, v11, vcc
	global_load_dwordx2 v[12:13], v[10:11], off
	v_mov_b32_e32 v10, s9
	v_add_co_u32_e32 v16, vcc, s8, v8
	v_addc_co_u32_e32 v17, vcc, v10, v9, vcc
	v_mov_b32_e32 v14, s1
	global_load_dwordx4 v[8:11], v[16:17], off
	s_waitcnt vmcnt(1)
	v_subrev_co_u32_e32 v12, vcc, s2, v12
	v_subbrev_co_u32_e32 v13, vcc, 0, v13, vcc
	v_lshlrev_b64 v[12:13], 4, v[12:13]
	v_add_co_u32_e32 v18, vcc, s0, v12
	v_addc_co_u32_e32 v19, vcc, v14, v13, vcc
	global_load_dwordx4 v[12:15], v[18:19], off
	s_waitcnt vmcnt(1)
	v_mul_f64 v[20:21], v[10:11], -v[2:3]
	v_mul_f64 v[22:23], v[0:1], v[10:11]
	v_mul_f64 v[24:25], v[10:11], -v[6:7]
	v_mul_f64 v[10:11], v[4:5], v[10:11]
	v_fmac_f64_e32 v[20:21], v[0:1], v[8:9]
	v_fmac_f64_e32 v[22:23], v[2:3], v[8:9]
	;; [unrolled: 1-line block ×4, first 2 shown]
	s_waitcnt vmcnt(0)
	v_mul_f64 v[8:9], v[14:15], -v[6:7]
	v_mul_f64 v[26:27], v[4:5], v[14:15]
	v_mul_f64 v[28:29], v[14:15], -v[2:3]
	v_mul_f64 v[14:15], v[0:1], v[14:15]
	v_fmac_f64_e32 v[8:9], v[4:5], v[12:13]
	v_fmac_f64_e32 v[26:27], v[6:7], v[12:13]
	;; [unrolled: 1-line block ×4, first 2 shown]
	v_add_f64 v[0:1], v[20:21], v[8:9]
	v_add_f64 v[2:3], v[22:23], v[26:27]
	v_add_f64 v[4:5], v[28:29], -v[24:25]
	v_add_f64 v[6:7], v[14:15], -v[10:11]
	global_store_dwordx4 v[16:17], v[0:3], off
	global_store_dwordx4 v[18:19], v[4:7], off
.LBB7_9:
	s_endpgm
	.section	.rodata,"a",@progbits
	.p2align	6, 0x0
	.amdhsa_kernel _ZN9rocsparseL11roti_kernelILj512El21rocsparse_complex_numIdEEEvT0_PT1_PKS3_S5_NS_24const_host_device_scalarIS4_EES9_21rocsparse_index_base_b
		.amdhsa_group_segment_fixed_size 8192
		.amdhsa_private_segment_fixed_size 0
		.amdhsa_kernarg_size 72
		.amdhsa_user_sgpr_count 8
		.amdhsa_user_sgpr_private_segment_buffer 1
		.amdhsa_user_sgpr_dispatch_ptr 1
		.amdhsa_user_sgpr_queue_ptr 0
		.amdhsa_user_sgpr_kernarg_segment_ptr 1
		.amdhsa_user_sgpr_dispatch_id 0
		.amdhsa_user_sgpr_flat_scratch_init 0
		.amdhsa_user_sgpr_kernarg_preload_length 0
		.amdhsa_user_sgpr_kernarg_preload_offset 0
		.amdhsa_user_sgpr_private_segment_size 0
		.amdhsa_uses_dynamic_stack 0
		.amdhsa_system_sgpr_private_segment_wavefront_offset 0
		.amdhsa_system_sgpr_workgroup_id_x 1
		.amdhsa_system_sgpr_workgroup_id_y 0
		.amdhsa_system_sgpr_workgroup_id_z 0
		.amdhsa_system_sgpr_workgroup_info 0
		.amdhsa_system_vgpr_workitem_id 2
		.amdhsa_next_free_vgpr 30
		.amdhsa_next_free_sgpr 20
		.amdhsa_accum_offset 32
		.amdhsa_reserve_vcc 1
		.amdhsa_reserve_flat_scratch 0
		.amdhsa_float_round_mode_32 0
		.amdhsa_float_round_mode_16_64 0
		.amdhsa_float_denorm_mode_32 3
		.amdhsa_float_denorm_mode_16_64 3
		.amdhsa_dx10_clamp 1
		.amdhsa_ieee_mode 1
		.amdhsa_fp16_overflow 0
		.amdhsa_tg_split 0
		.amdhsa_exception_fp_ieee_invalid_op 0
		.amdhsa_exception_fp_denorm_src 0
		.amdhsa_exception_fp_ieee_div_zero 0
		.amdhsa_exception_fp_ieee_overflow 0
		.amdhsa_exception_fp_ieee_underflow 0
		.amdhsa_exception_fp_ieee_inexact 0
		.amdhsa_exception_int_div_zero 0
	.end_amdhsa_kernel
	.section	.text._ZN9rocsparseL11roti_kernelILj512El21rocsparse_complex_numIdEEEvT0_PT1_PKS3_S5_NS_24const_host_device_scalarIS4_EES9_21rocsparse_index_base_b,"axG",@progbits,_ZN9rocsparseL11roti_kernelILj512El21rocsparse_complex_numIdEEEvT0_PT1_PKS3_S5_NS_24const_host_device_scalarIS4_EES9_21rocsparse_index_base_b,comdat
.Lfunc_end7:
	.size	_ZN9rocsparseL11roti_kernelILj512El21rocsparse_complex_numIdEEEvT0_PT1_PKS3_S5_NS_24const_host_device_scalarIS4_EES9_21rocsparse_index_base_b, .Lfunc_end7-_ZN9rocsparseL11roti_kernelILj512El21rocsparse_complex_numIdEEEvT0_PT1_PKS3_S5_NS_24const_host_device_scalarIS4_EES9_21rocsparse_index_base_b
                                        ; -- End function
	.section	.AMDGPU.csdata,"",@progbits
; Kernel info:
; codeLenInByte = 624
; NumSgprs: 24
; NumVgprs: 30
; NumAgprs: 0
; TotalNumVgprs: 30
; ScratchSize: 0
; MemoryBound: 0
; FloatMode: 240
; IeeeMode: 1
; LDSByteSize: 8192 bytes/workgroup (compile time only)
; SGPRBlocks: 2
; VGPRBlocks: 3
; NumSGPRsForWavesPerEU: 24
; NumVGPRsForWavesPerEU: 30
; AccumOffset: 32
; Occupancy: 8
; WaveLimiterHint : 1
; COMPUTE_PGM_RSRC2:SCRATCH_EN: 0
; COMPUTE_PGM_RSRC2:USER_SGPR: 8
; COMPUTE_PGM_RSRC2:TRAP_HANDLER: 0
; COMPUTE_PGM_RSRC2:TGID_X_EN: 1
; COMPUTE_PGM_RSRC2:TGID_Y_EN: 0
; COMPUTE_PGM_RSRC2:TGID_Z_EN: 0
; COMPUTE_PGM_RSRC2:TIDIG_COMP_CNT: 2
; COMPUTE_PGM_RSRC3_GFX90A:ACCUM_OFFSET: 7
; COMPUTE_PGM_RSRC3_GFX90A:TG_SPLIT: 0
	.text
	.p2alignl 6, 3212836864
	.fill 256, 4, 3212836864
	.type	__hip_cuid_8fcadf7c0453c9a7,@object ; @__hip_cuid_8fcadf7c0453c9a7
	.section	.bss,"aw",@nobits
	.globl	__hip_cuid_8fcadf7c0453c9a7
__hip_cuid_8fcadf7c0453c9a7:
	.byte	0                               ; 0x0
	.size	__hip_cuid_8fcadf7c0453c9a7, 1

	.ident	"AMD clang version 19.0.0git (https://github.com/RadeonOpenCompute/llvm-project roc-6.4.0 25133 c7fe45cf4b819c5991fe208aaa96edf142730f1d)"
	.section	".note.GNU-stack","",@progbits
	.addrsig
	.addrsig_sym __hip_cuid_8fcadf7c0453c9a7
	.amdgpu_metadata
---
amdhsa.kernels:
  - .agpr_count:     0
    .args:
      - .offset:         0
        .size:           4
        .value_kind:     by_value
      - .address_space:  global
        .offset:         8
        .size:           8
        .value_kind:     global_buffer
      - .actual_access:  read_only
        .address_space:  global
        .offset:         16
        .size:           8
        .value_kind:     global_buffer
      - .address_space:  global
        .offset:         24
        .size:           8
        .value_kind:     global_buffer
      - .offset:         32
        .size:           8
        .value_kind:     by_value
      - .offset:         40
        .size:           8
        .value_kind:     by_value
      - .offset:         48
        .size:           4
        .value_kind:     by_value
      - .offset:         52
        .size:           1
        .value_kind:     by_value
    .group_segment_fixed_size: 0
    .kernarg_segment_align: 8
    .kernarg_segment_size: 56
    .language:       OpenCL C
    .language_version:
      - 2
      - 0
    .max_flat_workgroup_size: 512
    .name:           _ZN9rocsparseL11roti_kernelILj512EifEEvT0_PT1_PKS1_S3_NS_24const_host_device_scalarIS2_EES7_21rocsparse_index_base_b
    .private_segment_fixed_size: 0
    .sgpr_count:     20
    .sgpr_spill_count: 0
    .symbol:         _ZN9rocsparseL11roti_kernelILj512EifEEvT0_PT1_PKS1_S3_NS_24const_host_device_scalarIS2_EES7_21rocsparse_index_base_b.kd
    .uniform_work_group_size: 1
    .uses_dynamic_stack: false
    .vgpr_count:     8
    .vgpr_spill_count: 0
    .wavefront_size: 64
  - .agpr_count:     0
    .args:
      - .offset:         0
        .size:           4
        .value_kind:     by_value
      - .address_space:  global
        .offset:         8
        .size:           8
        .value_kind:     global_buffer
      - .actual_access:  read_only
        .address_space:  global
        .offset:         16
        .size:           8
        .value_kind:     global_buffer
      - .address_space:  global
        .offset:         24
        .size:           8
        .value_kind:     global_buffer
      - .offset:         32
        .size:           8
        .value_kind:     by_value
      - .offset:         40
        .size:           8
        .value_kind:     by_value
      - .offset:         48
        .size:           4
        .value_kind:     by_value
      - .offset:         52
        .size:           1
        .value_kind:     by_value
    .group_segment_fixed_size: 0
    .kernarg_segment_align: 8
    .kernarg_segment_size: 56
    .language:       OpenCL C
    .language_version:
      - 2
      - 0
    .max_flat_workgroup_size: 512
    .name:           _ZN9rocsparseL11roti_kernelILj512Ei21rocsparse_complex_numIfEEEvT0_PT1_PKS3_S5_NS_24const_host_device_scalarIS4_EES9_21rocsparse_index_base_b
    .private_segment_fixed_size: 0
    .sgpr_count:     20
    .sgpr_spill_count: 0
    .symbol:         _ZN9rocsparseL11roti_kernelILj512Ei21rocsparse_complex_numIfEEEvT0_PT1_PKS3_S5_NS_24const_host_device_scalarIS4_EES9_21rocsparse_index_base_b.kd
    .uniform_work_group_size: 1
    .uses_dynamic_stack: false
    .vgpr_count:     20
    .vgpr_spill_count: 0
    .wavefront_size: 64
  - .agpr_count:     0
    .args:
      - .offset:         0
        .size:           4
        .value_kind:     by_value
      - .address_space:  global
        .offset:         8
        .size:           8
        .value_kind:     global_buffer
      - .actual_access:  read_only
        .address_space:  global
        .offset:         16
        .size:           8
        .value_kind:     global_buffer
      - .address_space:  global
        .offset:         24
        .size:           8
        .value_kind:     global_buffer
      - .offset:         32
        .size:           8
        .value_kind:     by_value
      - .offset:         40
        .size:           8
        .value_kind:     by_value
      - .offset:         48
        .size:           4
        .value_kind:     by_value
      - .offset:         52
        .size:           1
        .value_kind:     by_value
    .group_segment_fixed_size: 0
    .kernarg_segment_align: 8
    .kernarg_segment_size: 56
    .language:       OpenCL C
    .language_version:
      - 2
      - 0
    .max_flat_workgroup_size: 512
    .name:           _ZN9rocsparseL11roti_kernelILj512EidEEvT0_PT1_PKS1_S3_NS_24const_host_device_scalarIS2_EES7_21rocsparse_index_base_b
    .private_segment_fixed_size: 0
    .sgpr_count:     18
    .sgpr_spill_count: 0
    .symbol:         _ZN9rocsparseL11roti_kernelILj512EidEEvT0_PT1_PKS1_S3_NS_24const_host_device_scalarIS2_EES7_21rocsparse_index_base_b.kd
    .uniform_work_group_size: 1
    .uses_dynamic_stack: false
    .vgpr_count:     14
    .vgpr_spill_count: 0
    .wavefront_size: 64
  - .agpr_count:     0
    .args:
      - .offset:         0
        .size:           4
        .value_kind:     by_value
      - .address_space:  global
        .offset:         8
        .size:           8
        .value_kind:     global_buffer
      - .actual_access:  read_only
        .address_space:  global
        .offset:         16
        .size:           8
        .value_kind:     global_buffer
      - .address_space:  global
        .offset:         24
        .size:           8
        .value_kind:     global_buffer
      - .offset:         32
        .size:           16
        .value_kind:     by_value
      - .offset:         48
        .size:           16
        .value_kind:     by_value
      - .offset:         64
        .size:           4
        .value_kind:     by_value
      - .offset:         68
        .size:           1
        .value_kind:     by_value
    .group_segment_fixed_size: 8192
    .kernarg_segment_align: 8
    .kernarg_segment_size: 72
    .language:       OpenCL C
    .language_version:
      - 2
      - 0
    .max_flat_workgroup_size: 512
    .name:           _ZN9rocsparseL11roti_kernelILj512Ei21rocsparse_complex_numIdEEEvT0_PT1_PKS3_S5_NS_24const_host_device_scalarIS4_EES9_21rocsparse_index_base_b
    .private_segment_fixed_size: 0
    .sgpr_count:     24
    .sgpr_spill_count: 0
    .symbol:         _ZN9rocsparseL11roti_kernelILj512Ei21rocsparse_complex_numIdEEEvT0_PT1_PKS3_S5_NS_24const_host_device_scalarIS4_EES9_21rocsparse_index_base_b.kd
    .uniform_work_group_size: 1
    .uses_dynamic_stack: false
    .vgpr_count:     30
    .vgpr_spill_count: 0
    .wavefront_size: 64
  - .agpr_count:     0
    .args:
      - .offset:         0
        .size:           8
        .value_kind:     by_value
      - .address_space:  global
        .offset:         8
        .size:           8
        .value_kind:     global_buffer
      - .actual_access:  read_only
        .address_space:  global
        .offset:         16
        .size:           8
        .value_kind:     global_buffer
      - .address_space:  global
        .offset:         24
        .size:           8
        .value_kind:     global_buffer
      - .offset:         32
        .size:           8
        .value_kind:     by_value
      - .offset:         40
        .size:           8
        .value_kind:     by_value
      - .offset:         48
        .size:           4
        .value_kind:     by_value
      - .offset:         52
        .size:           1
        .value_kind:     by_value
    .group_segment_fixed_size: 0
    .kernarg_segment_align: 8
    .kernarg_segment_size: 56
    .language:       OpenCL C
    .language_version:
      - 2
      - 0
    .max_flat_workgroup_size: 512
    .name:           _ZN9rocsparseL11roti_kernelILj512ElfEEvT0_PT1_PKS1_S3_NS_24const_host_device_scalarIS2_EES7_21rocsparse_index_base_b
    .private_segment_fixed_size: 0
    .sgpr_count:     20
    .sgpr_spill_count: 0
    .symbol:         _ZN9rocsparseL11roti_kernelILj512ElfEEvT0_PT1_PKS1_S3_NS_24const_host_device_scalarIS2_EES7_21rocsparse_index_base_b.kd
    .uniform_work_group_size: 1
    .uses_dynamic_stack: false
    .vgpr_count:     8
    .vgpr_spill_count: 0
    .wavefront_size: 64
  - .agpr_count:     0
    .args:
      - .offset:         0
        .size:           8
        .value_kind:     by_value
      - .address_space:  global
        .offset:         8
        .size:           8
        .value_kind:     global_buffer
      - .actual_access:  read_only
        .address_space:  global
        .offset:         16
        .size:           8
        .value_kind:     global_buffer
      - .address_space:  global
        .offset:         24
        .size:           8
        .value_kind:     global_buffer
      - .offset:         32
        .size:           8
        .value_kind:     by_value
      - .offset:         40
        .size:           8
        .value_kind:     by_value
      - .offset:         48
        .size:           4
        .value_kind:     by_value
      - .offset:         52
        .size:           1
        .value_kind:     by_value
    .group_segment_fixed_size: 0
    .kernarg_segment_align: 8
    .kernarg_segment_size: 56
    .language:       OpenCL C
    .language_version:
      - 2
      - 0
    .max_flat_workgroup_size: 512
    .name:           _ZN9rocsparseL11roti_kernelILj512El21rocsparse_complex_numIfEEEvT0_PT1_PKS3_S5_NS_24const_host_device_scalarIS4_EES9_21rocsparse_index_base_b
    .private_segment_fixed_size: 0
    .sgpr_count:     20
    .sgpr_spill_count: 0
    .symbol:         _ZN9rocsparseL11roti_kernelILj512El21rocsparse_complex_numIfEEEvT0_PT1_PKS3_S5_NS_24const_host_device_scalarIS4_EES9_21rocsparse_index_base_b.kd
    .uniform_work_group_size: 1
    .uses_dynamic_stack: false
    .vgpr_count:     20
    .vgpr_spill_count: 0
    .wavefront_size: 64
  - .agpr_count:     0
    .args:
      - .offset:         0
        .size:           8
        .value_kind:     by_value
      - .address_space:  global
        .offset:         8
        .size:           8
        .value_kind:     global_buffer
      - .actual_access:  read_only
        .address_space:  global
        .offset:         16
        .size:           8
        .value_kind:     global_buffer
      - .address_space:  global
        .offset:         24
        .size:           8
        .value_kind:     global_buffer
      - .offset:         32
        .size:           8
        .value_kind:     by_value
      - .offset:         40
        .size:           8
        .value_kind:     by_value
      - .offset:         48
        .size:           4
        .value_kind:     by_value
      - .offset:         52
        .size:           1
        .value_kind:     by_value
    .group_segment_fixed_size: 0
    .kernarg_segment_align: 8
    .kernarg_segment_size: 56
    .language:       OpenCL C
    .language_version:
      - 2
      - 0
    .max_flat_workgroup_size: 512
    .name:           _ZN9rocsparseL11roti_kernelILj512EldEEvT0_PT1_PKS1_S3_NS_24const_host_device_scalarIS2_EES7_21rocsparse_index_base_b
    .private_segment_fixed_size: 0
    .sgpr_count:     18
    .sgpr_spill_count: 0
    .symbol:         _ZN9rocsparseL11roti_kernelILj512EldEEvT0_PT1_PKS1_S3_NS_24const_host_device_scalarIS2_EES7_21rocsparse_index_base_b.kd
    .uniform_work_group_size: 1
    .uses_dynamic_stack: false
    .vgpr_count:     14
    .vgpr_spill_count: 0
    .wavefront_size: 64
  - .agpr_count:     0
    .args:
      - .offset:         0
        .size:           8
        .value_kind:     by_value
      - .address_space:  global
        .offset:         8
        .size:           8
        .value_kind:     global_buffer
      - .actual_access:  read_only
        .address_space:  global
        .offset:         16
        .size:           8
        .value_kind:     global_buffer
      - .address_space:  global
        .offset:         24
        .size:           8
        .value_kind:     global_buffer
      - .offset:         32
        .size:           16
        .value_kind:     by_value
      - .offset:         48
        .size:           16
        .value_kind:     by_value
      - .offset:         64
        .size:           4
        .value_kind:     by_value
      - .offset:         68
        .size:           1
        .value_kind:     by_value
    .group_segment_fixed_size: 8192
    .kernarg_segment_align: 8
    .kernarg_segment_size: 72
    .language:       OpenCL C
    .language_version:
      - 2
      - 0
    .max_flat_workgroup_size: 512
    .name:           _ZN9rocsparseL11roti_kernelILj512El21rocsparse_complex_numIdEEEvT0_PT1_PKS3_S5_NS_24const_host_device_scalarIS4_EES9_21rocsparse_index_base_b
    .private_segment_fixed_size: 0
    .sgpr_count:     24
    .sgpr_spill_count: 0
    .symbol:         _ZN9rocsparseL11roti_kernelILj512El21rocsparse_complex_numIdEEEvT0_PT1_PKS3_S5_NS_24const_host_device_scalarIS4_EES9_21rocsparse_index_base_b.kd
    .uniform_work_group_size: 1
    .uses_dynamic_stack: false
    .vgpr_count:     30
    .vgpr_spill_count: 0
    .wavefront_size: 64
amdhsa.target:   amdgcn-amd-amdhsa--gfx90a
amdhsa.version:
  - 1
  - 2
...

	.end_amdgpu_metadata
